;; amdgpu-corpus repo=ROCm/rocFFT kind=compiled arch=gfx1201 opt=O3
	.text
	.amdgcn_target "amdgcn-amd-amdhsa--gfx1201"
	.amdhsa_code_object_version 6
	.protected	fft_rtc_fwd_len1768_factors_17_13_8_wgs_136_tpt_136_halfLds_dp_op_CI_CI_unitstride_sbrr_C2R_dirReg ; -- Begin function fft_rtc_fwd_len1768_factors_17_13_8_wgs_136_tpt_136_halfLds_dp_op_CI_CI_unitstride_sbrr_C2R_dirReg
	.globl	fft_rtc_fwd_len1768_factors_17_13_8_wgs_136_tpt_136_halfLds_dp_op_CI_CI_unitstride_sbrr_C2R_dirReg
	.p2align	8
	.type	fft_rtc_fwd_len1768_factors_17_13_8_wgs_136_tpt_136_halfLds_dp_op_CI_CI_unitstride_sbrr_C2R_dirReg,@function
fft_rtc_fwd_len1768_factors_17_13_8_wgs_136_tpt_136_halfLds_dp_op_CI_CI_unitstride_sbrr_C2R_dirReg: ; @fft_rtc_fwd_len1768_factors_17_13_8_wgs_136_tpt_136_halfLds_dp_op_CI_CI_unitstride_sbrr_C2R_dirReg
; %bb.0:
	s_clause 0x2
	s_load_b128 s[8:11], s[0:1], 0x0
	s_load_b128 s[4:7], s[0:1], 0x58
	;; [unrolled: 1-line block ×3, first 2 shown]
	v_mul_u32_u24_e32 v1, 0x1e2, v0
	v_mov_b32_e32 v3, 0
	s_delay_alu instid0(VALU_DEP_2) | instskip(NEXT) | instid1(VALU_DEP_1)
	v_lshrrev_b32_e32 v1, 16, v1
	v_add_nc_u32_e32 v5, ttmp9, v1
	v_mov_b32_e32 v1, 0
	v_mov_b32_e32 v2, 0
	;; [unrolled: 1-line block ×3, first 2 shown]
	s_wait_kmcnt 0x0
	v_cmp_lt_u64_e64 s2, s[10:11], 2
	s_delay_alu instid0(VALU_DEP_1)
	s_and_b32 vcc_lo, exec_lo, s2
	s_cbranch_vccnz .LBB0_8
; %bb.1:
	s_load_b64 s[2:3], s[0:1], 0x10
	v_mov_b32_e32 v1, 0
	v_mov_b32_e32 v2, 0
	s_add_nc_u64 s[16:17], s[14:15], 8
	s_add_nc_u64 s[18:19], s[12:13], 8
	s_mov_b64 s[20:21], 1
	s_delay_alu instid0(VALU_DEP_1)
	v_dual_mov_b32 v81, v2 :: v_dual_mov_b32 v80, v1
	s_wait_kmcnt 0x0
	s_add_nc_u64 s[22:23], s[2:3], 8
	s_mov_b32 s3, 0
.LBB0_2:                                ; =>This Inner Loop Header: Depth=1
	s_load_b64 s[24:25], s[22:23], 0x0
                                        ; implicit-def: $vgpr84_vgpr85
	s_mov_b32 s2, exec_lo
	s_wait_kmcnt 0x0
	v_or_b32_e32 v4, s25, v6
	s_delay_alu instid0(VALU_DEP_1)
	v_cmpx_ne_u64_e32 0, v[3:4]
	s_wait_alu 0xfffe
	s_xor_b32 s26, exec_lo, s2
	s_cbranch_execz .LBB0_4
; %bb.3:                                ;   in Loop: Header=BB0_2 Depth=1
	s_cvt_f32_u32 s2, s24
	s_cvt_f32_u32 s27, s25
	s_sub_nc_u64 s[30:31], 0, s[24:25]
	s_wait_alu 0xfffe
	s_delay_alu instid0(SALU_CYCLE_1) | instskip(SKIP_1) | instid1(SALU_CYCLE_2)
	s_fmamk_f32 s2, s27, 0x4f800000, s2
	s_wait_alu 0xfffe
	v_s_rcp_f32 s2, s2
	s_delay_alu instid0(TRANS32_DEP_1) | instskip(SKIP_1) | instid1(SALU_CYCLE_2)
	s_mul_f32 s2, s2, 0x5f7ffffc
	s_wait_alu 0xfffe
	s_mul_f32 s27, s2, 0x2f800000
	s_wait_alu 0xfffe
	s_delay_alu instid0(SALU_CYCLE_2) | instskip(SKIP_1) | instid1(SALU_CYCLE_2)
	s_trunc_f32 s27, s27
	s_wait_alu 0xfffe
	s_fmamk_f32 s2, s27, 0xcf800000, s2
	s_cvt_u32_f32 s29, s27
	s_wait_alu 0xfffe
	s_delay_alu instid0(SALU_CYCLE_1) | instskip(SKIP_1) | instid1(SALU_CYCLE_2)
	s_cvt_u32_f32 s28, s2
	s_wait_alu 0xfffe
	s_mul_u64 s[34:35], s[30:31], s[28:29]
	s_wait_alu 0xfffe
	s_mul_hi_u32 s37, s28, s35
	s_mul_i32 s36, s28, s35
	s_mul_hi_u32 s2, s28, s34
	s_mul_i32 s33, s29, s34
	s_wait_alu 0xfffe
	s_add_nc_u64 s[36:37], s[2:3], s[36:37]
	s_mul_hi_u32 s27, s29, s34
	s_mul_hi_u32 s38, s29, s35
	s_add_co_u32 s2, s36, s33
	s_wait_alu 0xfffe
	s_add_co_ci_u32 s2, s37, s27
	s_mul_i32 s34, s29, s35
	s_add_co_ci_u32 s35, s38, 0
	s_wait_alu 0xfffe
	s_add_nc_u64 s[34:35], s[2:3], s[34:35]
	s_wait_alu 0xfffe
	v_add_co_u32 v4, s2, s28, s34
	s_delay_alu instid0(VALU_DEP_1) | instskip(SKIP_1) | instid1(VALU_DEP_1)
	s_cmp_lg_u32 s2, 0
	s_add_co_ci_u32 s29, s29, s35
	v_readfirstlane_b32 s28, v4
	s_wait_alu 0xfffe
	s_delay_alu instid0(VALU_DEP_1)
	s_mul_u64 s[30:31], s[30:31], s[28:29]
	s_wait_alu 0xfffe
	s_mul_hi_u32 s35, s28, s31
	s_mul_i32 s34, s28, s31
	s_mul_hi_u32 s2, s28, s30
	s_mul_i32 s33, s29, s30
	s_wait_alu 0xfffe
	s_add_nc_u64 s[34:35], s[2:3], s[34:35]
	s_mul_hi_u32 s27, s29, s30
	s_mul_hi_u32 s28, s29, s31
	s_wait_alu 0xfffe
	s_add_co_u32 s2, s34, s33
	s_add_co_ci_u32 s2, s35, s27
	s_mul_i32 s30, s29, s31
	s_add_co_ci_u32 s31, s28, 0
	s_wait_alu 0xfffe
	s_add_nc_u64 s[30:31], s[2:3], s[30:31]
	s_wait_alu 0xfffe
	v_add_co_u32 v4, s2, v4, s30
	s_delay_alu instid0(VALU_DEP_1) | instskip(SKIP_1) | instid1(VALU_DEP_1)
	s_cmp_lg_u32 s2, 0
	s_add_co_ci_u32 s2, s29, s31
	v_mul_hi_u32 v13, v5, v4
	s_wait_alu 0xfffe
	v_mad_co_u64_u32 v[7:8], null, v5, s2, 0
	v_mad_co_u64_u32 v[9:10], null, v6, v4, 0
	;; [unrolled: 1-line block ×3, first 2 shown]
	s_delay_alu instid0(VALU_DEP_3) | instskip(SKIP_1) | instid1(VALU_DEP_4)
	v_add_co_u32 v4, vcc_lo, v13, v7
	s_wait_alu 0xfffd
	v_add_co_ci_u32_e32 v7, vcc_lo, 0, v8, vcc_lo
	s_delay_alu instid0(VALU_DEP_2) | instskip(SKIP_1) | instid1(VALU_DEP_2)
	v_add_co_u32 v4, vcc_lo, v4, v9
	s_wait_alu 0xfffd
	v_add_co_ci_u32_e32 v4, vcc_lo, v7, v10, vcc_lo
	s_wait_alu 0xfffd
	v_add_co_ci_u32_e32 v7, vcc_lo, 0, v12, vcc_lo
	s_delay_alu instid0(VALU_DEP_2) | instskip(SKIP_1) | instid1(VALU_DEP_2)
	v_add_co_u32 v4, vcc_lo, v4, v11
	s_wait_alu 0xfffd
	v_add_co_ci_u32_e32 v9, vcc_lo, 0, v7, vcc_lo
	s_delay_alu instid0(VALU_DEP_2) | instskip(SKIP_1) | instid1(VALU_DEP_3)
	v_mul_lo_u32 v10, s25, v4
	v_mad_co_u64_u32 v[7:8], null, s24, v4, 0
	v_mul_lo_u32 v11, s24, v9
	s_delay_alu instid0(VALU_DEP_2) | instskip(NEXT) | instid1(VALU_DEP_2)
	v_sub_co_u32 v7, vcc_lo, v5, v7
	v_add3_u32 v8, v8, v11, v10
	s_delay_alu instid0(VALU_DEP_1) | instskip(SKIP_1) | instid1(VALU_DEP_1)
	v_sub_nc_u32_e32 v10, v6, v8
	s_wait_alu 0xfffd
	v_subrev_co_ci_u32_e64 v10, s2, s25, v10, vcc_lo
	v_add_co_u32 v11, s2, v4, 2
	s_wait_alu 0xf1ff
	v_add_co_ci_u32_e64 v12, s2, 0, v9, s2
	v_sub_co_u32 v13, s2, v7, s24
	v_sub_co_ci_u32_e32 v8, vcc_lo, v6, v8, vcc_lo
	s_wait_alu 0xf1ff
	v_subrev_co_ci_u32_e64 v10, s2, 0, v10, s2
	s_delay_alu instid0(VALU_DEP_3) | instskip(NEXT) | instid1(VALU_DEP_3)
	v_cmp_le_u32_e32 vcc_lo, s24, v13
	v_cmp_eq_u32_e64 s2, s25, v8
	s_wait_alu 0xfffd
	v_cndmask_b32_e64 v13, 0, -1, vcc_lo
	v_cmp_le_u32_e32 vcc_lo, s25, v10
	s_wait_alu 0xfffd
	v_cndmask_b32_e64 v14, 0, -1, vcc_lo
	v_cmp_le_u32_e32 vcc_lo, s24, v7
	;; [unrolled: 3-line block ×3, first 2 shown]
	s_wait_alu 0xfffd
	v_cndmask_b32_e64 v15, 0, -1, vcc_lo
	v_cmp_eq_u32_e32 vcc_lo, s25, v10
	s_wait_alu 0xf1ff
	s_delay_alu instid0(VALU_DEP_2)
	v_cndmask_b32_e64 v7, v15, v7, s2
	s_wait_alu 0xfffd
	v_cndmask_b32_e32 v10, v14, v13, vcc_lo
	v_add_co_u32 v13, vcc_lo, v4, 1
	s_wait_alu 0xfffd
	v_add_co_ci_u32_e32 v14, vcc_lo, 0, v9, vcc_lo
	s_delay_alu instid0(VALU_DEP_3) | instskip(SKIP_1) | instid1(VALU_DEP_2)
	v_cmp_ne_u32_e32 vcc_lo, 0, v10
	s_wait_alu 0xfffd
	v_cndmask_b32_e32 v8, v14, v12, vcc_lo
	v_cndmask_b32_e32 v10, v13, v11, vcc_lo
	v_cmp_ne_u32_e32 vcc_lo, 0, v7
	s_wait_alu 0xfffd
	s_delay_alu instid0(VALU_DEP_2)
	v_dual_cndmask_b32 v85, v9, v8 :: v_dual_cndmask_b32 v84, v4, v10
.LBB0_4:                                ;   in Loop: Header=BB0_2 Depth=1
	s_wait_alu 0xfffe
	s_and_not1_saveexec_b32 s2, s26
	s_cbranch_execz .LBB0_6
; %bb.5:                                ;   in Loop: Header=BB0_2 Depth=1
	v_cvt_f32_u32_e32 v4, s24
	s_sub_co_i32 s26, 0, s24
	v_mov_b32_e32 v85, v3
	s_delay_alu instid0(VALU_DEP_2) | instskip(NEXT) | instid1(TRANS32_DEP_1)
	v_rcp_iflag_f32_e32 v4, v4
	v_mul_f32_e32 v4, 0x4f7ffffe, v4
	s_delay_alu instid0(VALU_DEP_1) | instskip(SKIP_1) | instid1(VALU_DEP_1)
	v_cvt_u32_f32_e32 v4, v4
	s_wait_alu 0xfffe
	v_mul_lo_u32 v7, s26, v4
	s_delay_alu instid0(VALU_DEP_1) | instskip(NEXT) | instid1(VALU_DEP_1)
	v_mul_hi_u32 v7, v4, v7
	v_add_nc_u32_e32 v4, v4, v7
	s_delay_alu instid0(VALU_DEP_1) | instskip(NEXT) | instid1(VALU_DEP_1)
	v_mul_hi_u32 v4, v5, v4
	v_mul_lo_u32 v7, v4, s24
	v_add_nc_u32_e32 v8, 1, v4
	s_delay_alu instid0(VALU_DEP_2) | instskip(NEXT) | instid1(VALU_DEP_1)
	v_sub_nc_u32_e32 v7, v5, v7
	v_subrev_nc_u32_e32 v9, s24, v7
	v_cmp_le_u32_e32 vcc_lo, s24, v7
	s_wait_alu 0xfffd
	s_delay_alu instid0(VALU_DEP_2) | instskip(NEXT) | instid1(VALU_DEP_1)
	v_dual_cndmask_b32 v7, v7, v9 :: v_dual_cndmask_b32 v4, v4, v8
	v_cmp_le_u32_e32 vcc_lo, s24, v7
	s_delay_alu instid0(VALU_DEP_2) | instskip(SKIP_1) | instid1(VALU_DEP_1)
	v_add_nc_u32_e32 v8, 1, v4
	s_wait_alu 0xfffd
	v_cndmask_b32_e32 v84, v4, v8, vcc_lo
.LBB0_6:                                ;   in Loop: Header=BB0_2 Depth=1
	s_wait_alu 0xfffe
	s_or_b32 exec_lo, exec_lo, s2
	v_mul_lo_u32 v4, v85, s24
	s_delay_alu instid0(VALU_DEP_2)
	v_mul_lo_u32 v9, v84, s25
	s_load_b64 s[26:27], s[18:19], 0x0
	v_mad_co_u64_u32 v[7:8], null, v84, s24, 0
	s_load_b64 s[24:25], s[16:17], 0x0
	s_add_nc_u64 s[20:21], s[20:21], 1
	s_add_nc_u64 s[16:17], s[16:17], 8
	s_wait_alu 0xfffe
	v_cmp_ge_u64_e64 s2, s[20:21], s[10:11]
	s_add_nc_u64 s[18:19], s[18:19], 8
	s_add_nc_u64 s[22:23], s[22:23], 8
	v_add3_u32 v4, v8, v9, v4
	v_sub_co_u32 v5, vcc_lo, v5, v7
	s_wait_alu 0xfffd
	s_delay_alu instid0(VALU_DEP_2) | instskip(SKIP_2) | instid1(VALU_DEP_1)
	v_sub_co_ci_u32_e32 v4, vcc_lo, v6, v4, vcc_lo
	s_and_b32 vcc_lo, exec_lo, s2
	s_wait_kmcnt 0x0
	v_mul_lo_u32 v6, s26, v4
	v_mul_lo_u32 v7, s27, v5
	v_mad_co_u64_u32 v[1:2], null, s26, v5, v[1:2]
	v_mul_lo_u32 v4, s24, v4
	v_mul_lo_u32 v8, s25, v5
	v_mad_co_u64_u32 v[80:81], null, s24, v5, v[80:81]
	s_delay_alu instid0(VALU_DEP_4) | instskip(NEXT) | instid1(VALU_DEP_2)
	v_add3_u32 v2, v7, v2, v6
	v_add3_u32 v81, v8, v81, v4
	s_wait_alu 0xfffe
	s_cbranch_vccnz .LBB0_9
; %bb.7:                                ;   in Loop: Header=BB0_2 Depth=1
	v_dual_mov_b32 v5, v84 :: v_dual_mov_b32 v6, v85
	s_branch .LBB0_2
.LBB0_8:
	v_dual_mov_b32 v81, v2 :: v_dual_mov_b32 v80, v1
	v_dual_mov_b32 v85, v6 :: v_dual_mov_b32 v84, v5
.LBB0_9:
	s_load_b64 s[0:1], s[0:1], 0x28
	v_mul_hi_u32 v3, 0x1e1e1e2, v0
	s_lshl_b64 s[10:11], s[10:11], 3
                                        ; implicit-def: $vgpr82
	s_wait_alu 0xfffe
	s_add_nc_u64 s[2:3], s[14:15], s[10:11]
	s_wait_kmcnt 0x0
	v_cmp_gt_u64_e32 vcc_lo, s[0:1], v[84:85]
	v_cmp_le_u64_e64 s0, s[0:1], v[84:85]
	s_delay_alu instid0(VALU_DEP_1)
	s_and_saveexec_b32 s1, s0
	s_wait_alu 0xfffe
	s_xor_b32 s0, exec_lo, s1
; %bb.10:
	v_mul_u32_u24_e32 v1, 0x88, v3
                                        ; implicit-def: $vgpr3
	s_delay_alu instid0(VALU_DEP_1)
	v_sub_nc_u32_e32 v82, v0, v1
                                        ; implicit-def: $vgpr0
                                        ; implicit-def: $vgpr1_vgpr2
; %bb.11:
	s_wait_alu 0xfffe
	s_or_saveexec_b32 s1, s0
	s_load_b64 s[2:3], s[2:3], 0x0
	s_xor_b32 exec_lo, exec_lo, s1
	s_cbranch_execz .LBB0_15
; %bb.12:
	s_add_nc_u64 s[10:11], s[12:13], s[10:11]
	v_lshlrev_b64_e32 v[1:2], 4, v[1:2]
	s_load_b64 s[10:11], s[10:11], 0x0
	s_wait_kmcnt 0x0
	v_mul_lo_u32 v6, s11, v84
	v_mul_lo_u32 v7, s10, v85
	v_mad_co_u64_u32 v[4:5], null, s10, v84, 0
	s_delay_alu instid0(VALU_DEP_1) | instskip(SKIP_1) | instid1(VALU_DEP_2)
	v_add3_u32 v5, v5, v7, v6
	v_mul_u32_u24_e32 v6, 0x88, v3
	v_lshlrev_b64_e32 v[3:4], 4, v[4:5]
	s_delay_alu instid0(VALU_DEP_2) | instskip(NEXT) | instid1(VALU_DEP_1)
	v_sub_nc_u32_e32 v82, v0, v6
	v_lshlrev_b32_e32 v54, 4, v82
	s_delay_alu instid0(VALU_DEP_3) | instskip(SKIP_1) | instid1(VALU_DEP_4)
	v_add_co_u32 v0, s0, s4, v3
	s_wait_alu 0xf1ff
	v_add_co_ci_u32_e64 v3, s0, s5, v4, s0
	s_mov_b32 s4, exec_lo
	s_delay_alu instid0(VALU_DEP_2) | instskip(SKIP_1) | instid1(VALU_DEP_2)
	v_add_co_u32 v0, s0, v0, v1
	s_wait_alu 0xf1ff
	v_add_co_ci_u32_e64 v1, s0, v3, v2, s0
	s_delay_alu instid0(VALU_DEP_2) | instskip(SKIP_1) | instid1(VALU_DEP_2)
	v_add_co_u32 v50, s0, v0, v54
	s_wait_alu 0xf1ff
	v_add_co_ci_u32_e64 v51, s0, 0, v1, s0
	s_clause 0xc
	global_load_b128 v[2:5], v[50:51], off
	global_load_b128 v[6:9], v[50:51], off offset:2176
	global_load_b128 v[10:13], v[50:51], off offset:4352
	global_load_b128 v[14:17], v[50:51], off offset:6528
	global_load_b128 v[18:21], v[50:51], off offset:8704
	global_load_b128 v[22:25], v[50:51], off offset:10880
	global_load_b128 v[26:29], v[50:51], off offset:13056
	global_load_b128 v[30:33], v[50:51], off offset:15232
	global_load_b128 v[34:37], v[50:51], off offset:17408
	global_load_b128 v[38:41], v[50:51], off offset:19584
	global_load_b128 v[42:45], v[50:51], off offset:21760
	global_load_b128 v[46:49], v[50:51], off offset:23936
	global_load_b128 v[50:53], v[50:51], off offset:26112
	v_add_nc_u32_e32 v54, 0, v54
	s_wait_loadcnt 0xc
	ds_store_b128 v54, v[2:5]
	s_wait_loadcnt 0xb
	ds_store_b128 v54, v[6:9] offset:2176
	s_wait_loadcnt 0xa
	ds_store_b128 v54, v[10:13] offset:4352
	;; [unrolled: 2-line block ×12, first 2 shown]
	v_cmpx_eq_u32_e32 0x87, v82
	s_cbranch_execz .LBB0_14
; %bb.13:
	global_load_b128 v[0:3], v[0:1], off offset:28288
	v_mov_b32_e32 v4, 0
	v_mov_b32_e32 v82, 0x87
	s_wait_loadcnt 0x0
	ds_store_b128 v4, v[0:3] offset:28288
.LBB0_14:
	s_wait_alu 0xfffe
	s_or_b32 exec_lo, exec_lo, s4
.LBB0_15:
	s_delay_alu instid0(SALU_CYCLE_1)
	s_or_b32 exec_lo, exec_lo, s1
	v_lshlrev_b32_e32 v0, 4, v82
	global_wb scope:SCOPE_SE
	s_wait_dscnt 0x0
	s_wait_kmcnt 0x0
	s_barrier_signal -1
	s_barrier_wait -1
	global_inv scope:SCOPE_SE
	v_add_nc_u32_e32 v246, 0, v0
	v_sub_nc_u32_e32 v10, 0, v0
	s_mov_b32 s1, exec_lo
                                        ; implicit-def: $vgpr4_vgpr5
	ds_load_b64 v[6:7], v246
	ds_load_b64 v[8:9], v10 offset:28288
	s_wait_dscnt 0x0
	v_add_f64_e32 v[0:1], v[6:7], v[8:9]
	v_add_f64_e64 v[2:3], v[6:7], -v[8:9]
	v_cmpx_ne_u32_e32 0, v82
	s_wait_alu 0xfffe
	s_xor_b32 s1, exec_lo, s1
	s_cbranch_execz .LBB0_17
; %bb.16:
	v_mov_b32_e32 v83, 0
	v_add_f64_e32 v[13:14], v[6:7], v[8:9]
	v_add_f64_e64 v[15:16], v[6:7], -v[8:9]
	s_delay_alu instid0(VALU_DEP_3) | instskip(NEXT) | instid1(VALU_DEP_1)
	v_lshlrev_b64_e32 v[0:1], 4, v[82:83]
	v_add_co_u32 v0, s0, s8, v0
	s_wait_alu 0xf1ff
	s_delay_alu instid0(VALU_DEP_2)
	v_add_co_ci_u32_e64 v1, s0, s9, v1, s0
	global_load_b128 v[2:5], v[0:1], off offset:28016
	ds_load_b64 v[0:1], v10 offset:28296
	ds_load_b64 v[11:12], v246 offset:8
	s_wait_dscnt 0x0
	v_add_f64_e32 v[6:7], v[0:1], v[11:12]
	v_add_f64_e64 v[0:1], v[11:12], -v[0:1]
	s_wait_loadcnt 0x0
	v_fma_f64 v[8:9], v[15:16], v[4:5], v[13:14]
	v_fma_f64 v[11:12], -v[15:16], v[4:5], v[13:14]
	s_delay_alu instid0(VALU_DEP_3) | instskip(SKIP_1) | instid1(VALU_DEP_4)
	v_fma_f64 v[13:14], v[6:7], v[4:5], -v[0:1]
	v_fma_f64 v[4:5], v[6:7], v[4:5], v[0:1]
	v_fma_f64 v[0:1], -v[6:7], v[2:3], v[8:9]
	s_delay_alu instid0(VALU_DEP_4) | instskip(NEXT) | instid1(VALU_DEP_4)
	v_fma_f64 v[6:7], v[6:7], v[2:3], v[11:12]
	v_fma_f64 v[8:9], v[15:16], v[2:3], v[13:14]
	s_delay_alu instid0(VALU_DEP_4)
	v_fma_f64 v[2:3], v[15:16], v[2:3], v[4:5]
	v_dual_mov_b32 v4, v82 :: v_dual_mov_b32 v5, v83
	ds_store_b128 v10, v[6:9] offset:28288
.LBB0_17:
	s_wait_alu 0xfffe
	s_and_not1_saveexec_b32 s0, s1
	s_cbranch_execz .LBB0_19
; %bb.18:
	v_mov_b32_e32 v8, 0
	ds_load_b128 v[4:7], v8 offset:14144
	s_wait_dscnt 0x0
	v_add_f64_e32 v[11:12], v[4:5], v[4:5]
	v_mul_f64_e32 v[13:14], -2.0, v[6:7]
	v_mov_b32_e32 v4, 0
	v_mov_b32_e32 v5, 0
	ds_store_b128 v8, v[11:14] offset:14144
.LBB0_19:
	s_wait_alu 0xfffe
	s_or_b32 exec_lo, exec_lo, s0
	v_lshlrev_b64_e32 v[4:5], 4, v[4:5]
	s_add_nc_u64 s[0:1], s[8:9], 0x6d70
	s_wait_alu 0xfffe
	s_delay_alu instid0(VALU_DEP_1) | instskip(SKIP_1) | instid1(VALU_DEP_2)
	v_add_co_u32 v4, s0, s0, v4
	s_wait_alu 0xf1ff
	v_add_co_ci_u32_e64 v5, s0, s1, v5, s0
	s_mov_b32 s1, exec_lo
	s_clause 0x1
	global_load_b128 v[6:9], v[4:5], off offset:2176
	global_load_b128 v[11:14], v[4:5], off offset:4352
	ds_store_b128 v246, v[0:3]
	ds_load_b128 v[0:3], v246 offset:2176
	ds_load_b128 v[15:18], v10 offset:26112
	global_load_b128 v[19:22], v[4:5], off offset:6528
	s_wait_dscnt 0x0
	v_add_f64_e32 v[23:24], v[0:1], v[15:16]
	v_add_f64_e32 v[25:26], v[17:18], v[2:3]
	v_add_f64_e64 v[27:28], v[0:1], -v[15:16]
	v_add_f64_e64 v[0:1], v[2:3], -v[17:18]
	s_wait_loadcnt 0x2
	s_delay_alu instid0(VALU_DEP_2) | instskip(NEXT) | instid1(VALU_DEP_2)
	v_fma_f64 v[2:3], v[27:28], v[8:9], v[23:24]
	v_fma_f64 v[15:16], v[25:26], v[8:9], v[0:1]
	v_fma_f64 v[17:18], -v[27:28], v[8:9], v[23:24]
	v_fma_f64 v[8:9], v[25:26], v[8:9], -v[0:1]
	s_delay_alu instid0(VALU_DEP_4) | instskip(NEXT) | instid1(VALU_DEP_4)
	v_fma_f64 v[0:1], -v[25:26], v[6:7], v[2:3]
	v_fma_f64 v[2:3], v[27:28], v[6:7], v[15:16]
	s_delay_alu instid0(VALU_DEP_4) | instskip(NEXT) | instid1(VALU_DEP_4)
	v_fma_f64 v[15:16], v[25:26], v[6:7], v[17:18]
	v_fma_f64 v[17:18], v[27:28], v[6:7], v[8:9]
	ds_store_b128 v246, v[0:3] offset:2176
	ds_store_b128 v10, v[15:18] offset:26112
	ds_load_b128 v[0:3], v246 offset:4352
	ds_load_b128 v[6:9], v10 offset:23936
	global_load_b128 v[15:18], v[4:5], off offset:8704
	s_wait_dscnt 0x0
	v_add_f64_e32 v[23:24], v[0:1], v[6:7]
	v_add_f64_e32 v[25:26], v[8:9], v[2:3]
	v_add_f64_e64 v[27:28], v[0:1], -v[6:7]
	v_add_f64_e64 v[0:1], v[2:3], -v[8:9]
	s_wait_loadcnt 0x2
	s_delay_alu instid0(VALU_DEP_2) | instskip(NEXT) | instid1(VALU_DEP_2)
	v_fma_f64 v[2:3], v[27:28], v[13:14], v[23:24]
	v_fma_f64 v[6:7], v[25:26], v[13:14], v[0:1]
	v_fma_f64 v[8:9], -v[27:28], v[13:14], v[23:24]
	v_fma_f64 v[13:14], v[25:26], v[13:14], -v[0:1]
	s_delay_alu instid0(VALU_DEP_4) | instskip(NEXT) | instid1(VALU_DEP_4)
	v_fma_f64 v[0:1], -v[25:26], v[11:12], v[2:3]
	v_fma_f64 v[2:3], v[27:28], v[11:12], v[6:7]
	s_delay_alu instid0(VALU_DEP_4) | instskip(NEXT) | instid1(VALU_DEP_4)
	v_fma_f64 v[6:7], v[25:26], v[11:12], v[8:9]
	v_fma_f64 v[8:9], v[27:28], v[11:12], v[13:14]
	ds_store_b128 v246, v[0:3] offset:4352
	ds_store_b128 v10, v[6:9] offset:23936
	ds_load_b128 v[0:3], v246 offset:6528
	ds_load_b128 v[6:9], v10 offset:21760
	global_load_b128 v[11:14], v[4:5], off offset:10880
	s_wait_dscnt 0x0
	v_add_f64_e32 v[23:24], v[0:1], v[6:7]
	v_add_f64_e32 v[25:26], v[8:9], v[2:3]
	v_add_f64_e64 v[27:28], v[0:1], -v[6:7]
	v_add_f64_e64 v[0:1], v[2:3], -v[8:9]
	s_wait_loadcnt 0x2
	s_delay_alu instid0(VALU_DEP_2) | instskip(NEXT) | instid1(VALU_DEP_2)
	v_fma_f64 v[2:3], v[27:28], v[21:22], v[23:24]
	v_fma_f64 v[6:7], v[25:26], v[21:22], v[0:1]
	v_fma_f64 v[8:9], -v[27:28], v[21:22], v[23:24]
	v_fma_f64 v[21:22], v[25:26], v[21:22], -v[0:1]
	s_delay_alu instid0(VALU_DEP_4) | instskip(NEXT) | instid1(VALU_DEP_4)
	v_fma_f64 v[0:1], -v[25:26], v[19:20], v[2:3]
	v_fma_f64 v[2:3], v[27:28], v[19:20], v[6:7]
	s_delay_alu instid0(VALU_DEP_4) | instskip(NEXT) | instid1(VALU_DEP_4)
	v_fma_f64 v[6:7], v[25:26], v[19:20], v[8:9]
	v_fma_f64 v[8:9], v[27:28], v[19:20], v[21:22]
	ds_store_b128 v246, v[0:3] offset:6528
	ds_store_b128 v10, v[6:9] offset:21760
	ds_load_b128 v[0:3], v246 offset:8704
	ds_load_b128 v[6:9], v10 offset:19584
	s_wait_dscnt 0x0
	v_add_f64_e32 v[19:20], v[0:1], v[6:7]
	v_add_f64_e32 v[21:22], v[8:9], v[2:3]
	v_add_f64_e64 v[23:24], v[0:1], -v[6:7]
	v_add_f64_e64 v[0:1], v[2:3], -v[8:9]
	s_wait_loadcnt 0x1
	s_delay_alu instid0(VALU_DEP_2) | instskip(NEXT) | instid1(VALU_DEP_2)
	v_fma_f64 v[2:3], v[23:24], v[17:18], v[19:20]
	v_fma_f64 v[6:7], v[21:22], v[17:18], v[0:1]
	v_fma_f64 v[8:9], -v[23:24], v[17:18], v[19:20]
	v_fma_f64 v[17:18], v[21:22], v[17:18], -v[0:1]
	s_delay_alu instid0(VALU_DEP_4) | instskip(NEXT) | instid1(VALU_DEP_4)
	v_fma_f64 v[0:1], -v[21:22], v[15:16], v[2:3]
	v_fma_f64 v[2:3], v[23:24], v[15:16], v[6:7]
	s_delay_alu instid0(VALU_DEP_4) | instskip(NEXT) | instid1(VALU_DEP_4)
	v_fma_f64 v[6:7], v[21:22], v[15:16], v[8:9]
	v_fma_f64 v[8:9], v[23:24], v[15:16], v[17:18]
	ds_store_b128 v246, v[0:3] offset:8704
	ds_store_b128 v10, v[6:9] offset:19584
	ds_load_b128 v[0:3], v246 offset:10880
	ds_load_b128 v[6:9], v10 offset:17408
	s_wait_dscnt 0x0
	v_add_f64_e32 v[15:16], v[0:1], v[6:7]
	v_add_f64_e32 v[17:18], v[8:9], v[2:3]
	v_add_f64_e64 v[19:20], v[0:1], -v[6:7]
	v_add_f64_e64 v[0:1], v[2:3], -v[8:9]
	s_wait_loadcnt 0x0
	s_delay_alu instid0(VALU_DEP_2) | instskip(NEXT) | instid1(VALU_DEP_2)
	v_fma_f64 v[2:3], v[19:20], v[13:14], v[15:16]
	v_fma_f64 v[6:7], v[17:18], v[13:14], v[0:1]
	v_fma_f64 v[8:9], -v[19:20], v[13:14], v[15:16]
	v_fma_f64 v[13:14], v[17:18], v[13:14], -v[0:1]
	s_delay_alu instid0(VALU_DEP_4) | instskip(NEXT) | instid1(VALU_DEP_4)
	v_fma_f64 v[0:1], -v[17:18], v[11:12], v[2:3]
	v_fma_f64 v[2:3], v[19:20], v[11:12], v[6:7]
	s_delay_alu instid0(VALU_DEP_4) | instskip(NEXT) | instid1(VALU_DEP_4)
	v_fma_f64 v[6:7], v[17:18], v[11:12], v[8:9]
	v_fma_f64 v[8:9], v[19:20], v[11:12], v[13:14]
	ds_store_b128 v246, v[0:3] offset:10880
	ds_store_b128 v10, v[6:9] offset:17408
	v_cmpx_gt_u32_e32 0x44, v82
	s_cbranch_execz .LBB0_21
; %bb.20:
	global_load_b128 v[0:3], v[4:5], off offset:13056
	ds_load_b128 v[4:7], v246 offset:13056
	ds_load_b128 v[11:14], v10 offset:15232
	s_wait_dscnt 0x0
	v_add_f64_e32 v[8:9], v[4:5], v[11:12]
	v_add_f64_e32 v[15:16], v[13:14], v[6:7]
	v_add_f64_e64 v[11:12], v[4:5], -v[11:12]
	v_add_f64_e64 v[4:5], v[6:7], -v[13:14]
	s_wait_loadcnt 0x0
	s_delay_alu instid0(VALU_DEP_2) | instskip(NEXT) | instid1(VALU_DEP_2)
	v_fma_f64 v[6:7], v[11:12], v[2:3], v[8:9]
	v_fma_f64 v[13:14], v[15:16], v[2:3], v[4:5]
	v_fma_f64 v[8:9], -v[11:12], v[2:3], v[8:9]
	v_fma_f64 v[17:18], v[15:16], v[2:3], -v[4:5]
	s_delay_alu instid0(VALU_DEP_4) | instskip(NEXT) | instid1(VALU_DEP_4)
	v_fma_f64 v[2:3], -v[15:16], v[0:1], v[6:7]
	v_fma_f64 v[4:5], v[11:12], v[0:1], v[13:14]
	s_delay_alu instid0(VALU_DEP_4) | instskip(NEXT) | instid1(VALU_DEP_4)
	v_fma_f64 v[6:7], v[15:16], v[0:1], v[8:9]
	v_fma_f64 v[8:9], v[11:12], v[0:1], v[17:18]
	ds_store_b128 v246, v[2:5] offset:13056
	ds_store_b128 v10, v[6:9] offset:15232
.LBB0_21:
	s_wait_alu 0xfffe
	s_or_b32 exec_lo, exec_lo, s1
	global_wb scope:SCOPE_SE
	s_wait_dscnt 0x0
	s_barrier_signal -1
	s_barrier_wait -1
	global_inv scope:SCOPE_SE
	global_wb scope:SCOPE_SE
	s_barrier_signal -1
	s_barrier_wait -1
	global_inv scope:SCOPE_SE
	ds_load_b128 v[12:15], v246 offset:26624
	ds_load_b128 v[32:35], v246 offset:1664
	ds_load_b128 v[16:19], v246
	ds_load_b128 v[20:23], v246 offset:24960
	ds_load_b128 v[40:43], v246 offset:3328
	;; [unrolled: 1-line block ×3, first 2 shown]
	s_mov_b32 s16, 0x2a9d6da3
	s_mov_b32 s17, 0xbfe58eea
	ds_load_b128 v[24:27], v246 offset:23296
	s_mov_b32 s4, 0x75d4884
	s_mov_b32 s14, 0xeb564b22
	;; [unrolled: 1-line block ×4, first 2 shown]
	ds_load_b128 v[28:31], v246 offset:21632
	ds_load_b128 v[48:51], v246 offset:6656
	s_mov_b32 s10, 0x3259b75e
	s_mov_b32 s12, 0x6c9a05f6
	;; [unrolled: 1-line block ×6, first 2 shown]
	ds_load_b128 v[52:55], v246 offset:8320
	ds_load_b128 v[44:47], v246 offset:19968
	s_mov_b32 s20, 0x6ed5f1bb
	s_mov_b32 s30, 0xacd6c6b4
	s_wait_dscnt 0x9
	v_add_f64_e64 v[156:157], v[34:35], -v[14:15]
	v_add_f64_e64 v[158:159], v[32:33], -v[12:13]
	v_add_f64_e32 v[152:153], v[32:33], v[12:13]
	s_wait_dscnt 0x6
	v_add_f64_e64 v[92:93], v[42:43], -v[22:23]
	v_add_f64_e32 v[162:163], v[34:35], v[14:15]
	v_add_f64_e64 v[86:87], v[40:41], -v[20:21]
	v_add_f64_e32 v[88:89], v[40:41], v[20:21]
	s_wait_dscnt 0x4
	v_add_f64_e64 v[94:95], v[38:39], -v[26:27]
	v_add_f64_e32 v[96:97], v[42:43], v[22:23]
	v_add_f64_e64 v[90:91], v[36:37], -v[24:25]
	v_add_f64_e32 v[98:99], v[36:37], v[24:25]
	v_add_f64_e32 v[104:105], v[38:39], v[26:27]
	s_wait_dscnt 0x2
	v_add_f64_e64 v[102:103], v[50:51], -v[30:31]
	v_add_f64_e64 v[100:101], v[48:49], -v[28:29]
	s_mov_b32 s22, 0x2b2883cd
	s_mov_b32 s21, 0xbfe348c8
	;; [unrolled: 1-line block ×4, first 2 shown]
	v_add_f64_e32 v[110:111], v[48:49], v[28:29]
	s_wait_dscnt 0x0
	v_add_f64_e64 v[122:123], v[54:55], -v[46:47]
	v_add_f64_e64 v[112:113], v[52:53], -v[44:45]
	v_add_f64_e32 v[126:127], v[50:51], v[30:31]
	ds_load_b128 v[56:59], v246 offset:18304
	ds_load_b128 v[64:67], v246 offset:9984
	s_mov_b32 s24, 0x7faef3
	s_mov_b32 s28, 0x4363dd80
	;; [unrolled: 1-line block ×7, first 2 shown]
	s_wait_alu 0xfffe
	s_mov_b32 s26, s30
	v_add_f64_e32 v[114:115], v[52:53], v[44:45]
	v_add_f64_e32 v[136:137], v[54:55], v[46:47]
	s_mov_b32 s36, 0x910ea3b9
	s_mov_b32 s38, 0xc61f0d01
	;; [unrolled: 1-line block ×4, first 2 shown]
	v_mul_f64_e32 v[166:167], s[16:17], v[156:157]
	v_mul_f64_e32 v[168:169], s[16:17], v[158:159]
	;; [unrolled: 1-line block ×16, first 2 shown]
	s_wait_dscnt 0x0
	v_add_f64_e64 v[134:135], v[66:67], -v[58:59]
	v_add_f64_e64 v[116:117], v[64:65], -v[56:57]
	s_wait_alu 0xfffe
	v_mul_f64_e32 v[178:179], s[26:27], v[94:95]
	v_mul_f64_e32 v[198:199], s[28:29], v[122:123]
	;; [unrolled: 1-line block ×6, first 2 shown]
	s_mov_b32 s39, 0xbfd183b1
	s_mov_b32 s47, 0x3fd71e95
	v_add_f64_e32 v[118:119], v[64:65], v[56:57]
	v_add_f64_e32 v[142:143], v[66:67], v[58:59]
	v_mul_f64_e32 v[196:197], s[34:35], v[102:103]
	v_mul_f64_e32 v[202:203], s[34:35], v[100:101]
	;; [unrolled: 1-line block ×4, first 2 shown]
	s_mov_b32 s44, 0x370991
	s_mov_b32 s41, 0x3feca52d
	;; [unrolled: 1-line block ×6, first 2 shown]
	v_fma_f64 v[0:1], v[152:153], s[4:5], v[166:167]
	v_fma_f64 v[2:3], v[162:163], s[4:5], -v[168:169]
	v_mul_f64_e32 v[212:213], s[42:43], v[122:123]
	scratch_store_b64 off, v[4:5], off offset:32 ; 8-byte Folded Spill
	v_fma_f64 v[4:5], v[88:89], s[10:11], v[4:5]
	scratch_store_b64 off, v[6:7], off offset:40 ; 8-byte Folded Spill
	v_fma_f64 v[6:7], v[96:97], s[10:11], -v[6:7]
	v_fma_f64 v[8:9], v[98:99], s[20:21], v[124:125]
	v_fma_f64 v[72:73], v[152:153], s[10:11], v[242:243]
	v_fma_f64 v[10:11], v[104:105], s[20:21], -v[128:129]
	v_fma_f64 v[74:75], v[162:163], s[10:11], -v[244:245]
	ds_load_b128 v[68:71], v246 offset:11648
	ds_load_b128 v[60:63], v246 offset:16640
	v_fma_f64 v[130:131], v[110:111], s[24:25], v[186:187]
	v_fma_f64 v[132:133], v[126:127], s[24:25], -v[190:191]
	v_fma_f64 v[138:139], v[88:89], s[24:25], v[148:149]
	v_fma_f64 v[146:147], v[96:97], s[24:25], -v[154:155]
	v_mul_f64_e32 v[210:211], s[34:35], v[134:135]
	v_mul_f64_e32 v[214:215], s[34:35], v[116:117]
	v_fma_f64 v[192:193], v[98:99], s[24:25], v[178:179]
	v_fma_f64 v[184:185], v[114:115], s[36:37], v[198:199]
	v_fma_f64 v[188:189], v[136:137], s[36:37], -v[206:207]
	v_mul_f64_e32 v[216:217], s[42:43], v[112:113]
	v_mul_f64_e32 v[180:181], s[18:19], v[122:123]
	v_fma_f64 v[194:195], v[104:105], s[38:39], -v[164:165]
	s_mov_b32 s49, 0xbfd71e95
	s_mov_b32 s53, 0xbfe0d888
	;; [unrolled: 1-line block ×4, first 2 shown]
	v_fma_f64 v[208:209], v[110:111], s[38:39], v[196:197]
	v_fma_f64 v[226:227], v[126:127], s[38:39], -v[202:203]
	v_mul_f64_e32 v[218:219], s[48:49], v[134:135]
	s_wait_dscnt 0x0
	v_add_f64_e64 v[140:141], v[70:71], -v[62:63]
	v_add_f64_e64 v[120:121], v[68:69], -v[60:61]
	v_fma_f64 v[228:229], v[126:127], s[44:45], -v[174:175]
	v_mul_f64_e32 v[222:223], s[48:49], v[116:117]
	s_mov_b32 s51, 0x3fe9895b
	s_mov_b32 s50, s12
	s_mov_b32 s33, exec_lo
	v_add_f64_e32 v[0:1], v[16:17], v[0:1]
	v_add_f64_e32 v[2:3], v[18:19], v[2:3]
	;; [unrolled: 1-line block ×4, first 2 shown]
	ds_load_b128 v[76:79], v246 offset:13312
	ds_load_b128 v[72:75], v246 offset:14976
	v_fma_f64 v[200:201], v[118:119], s[38:39], v[210:211]
	v_fma_f64 v[204:205], v[142:143], s[38:39], -v[214:215]
	v_fma_f64 v[247:248], v[114:115], s[22:23], v[180:181]
	v_fma_f64 v[106:107], v[118:119], s[44:45], v[218:219]
	v_mul_f64_e32 v[220:221], s[40:41], v[140:141]
	v_mul_f64_e32 v[224:225], s[40:41], v[120:121]
	v_fma_f64 v[108:109], v[142:143], s[44:45], -v[222:223]
	v_add_f64_e32 v[0:1], v[4:5], v[0:1]
	v_add_f64_e32 v[2:3], v[6:7], v[2:3]
	v_fma_f64 v[4:5], v[152:153], s[22:23], v[238:239]
	v_fma_f64 v[6:7], v[162:163], s[22:23], -v[240:241]
	v_add_f64_e32 v[138:139], v[138:139], v[144:145]
	s_wait_dscnt 0x0
	v_add_f64_e64 v[144:145], v[78:79], -v[74:75]
	v_add_f64_e32 v[150:151], v[146:147], v[150:151]
	v_add_f64_e32 v[146:147], v[70:71], v[62:63]
	;; [unrolled: 1-line block ×4, first 2 shown]
	v_fma_f64 v[8:9], v[88:89], s[20:21], v[172:173]
	v_add_f64_e32 v[4:5], v[16:17], v[4:5]
	v_fma_f64 v[10:11], v[96:97], s[20:21], -v[176:177]
	v_add_f64_e32 v[6:7], v[18:19], v[6:7]
	v_mul_f64_e32 v[230:231], s[46:47], v[144:145]
	v_add_f64_e32 v[194:195], v[194:195], v[150:151]
	v_add_f64_e32 v[150:151], v[78:79], v[74:75]
	v_fma_f64 v[236:237], v[146:147], s[22:23], -v[224:225]
	v_add_f64_e32 v[0:1], v[130:131], v[0:1]
	v_add_f64_e32 v[2:3], v[132:133], v[2:3]
	;; [unrolled: 1-line block ×4, first 2 shown]
	v_fma_f64 v[8:9], v[104:105], s[24:25], -v[182:183]
	v_add_f64_e32 v[6:7], v[10:11], v[6:7]
	v_fma_f64 v[10:11], v[98:99], s[38:39], v[160:161]
	v_add_f64_e64 v[132:133], v[76:77], -v[72:73]
	v_add_f64_e32 v[249:250], v[228:229], v[194:195]
	v_mul_f64_e32 v[228:229], s[14:15], v[120:121]
	v_mul_f64_e32 v[194:195], s[50:51], v[140:141]
	v_add_f64_e32 v[0:1], v[184:185], v[0:1]
	v_add_f64_e32 v[2:3], v[188:189], v[2:3]
	v_mul_f64_e32 v[184:185], s[18:19], v[112:113]
	v_add_f64_e32 v[4:5], v[192:193], v[4:5]
	v_mul_f64_e32 v[188:189], s[52:53], v[134:135]
	v_add_f64_e32 v[6:7], v[8:9], v[6:7]
	v_fma_f64 v[8:9], v[110:111], s[44:45], v[170:171]
	v_add_f64_e32 v[10:11], v[10:11], v[138:139]
	v_add_f64_e32 v[138:139], v[76:77], v[72:73]
	v_fma_f64 v[232:233], v[130:131], s[22:23], v[220:221]
	v_mul_f64_e32 v[192:193], s[52:53], v[116:117]
	v_mul_f64_e32 v[234:235], s[46:47], v[132:133]
	v_add_f64_e32 v[0:1], v[200:201], v[0:1]
	v_add_f64_e32 v[2:3], v[204:205], v[2:3]
	v_fma_f64 v[204:205], v[114:115], s[4:5], v[212:213]
	v_add_f64_e32 v[4:5], v[208:209], v[4:5]
	v_fma_f64 v[208:209], v[136:137], s[4:5], -v[216:217]
	v_add_f64_e32 v[6:7], v[226:227], v[6:7]
	v_mul_f64_e32 v[226:227], s[14:15], v[140:141]
	v_add_f64_e32 v[8:9], v[8:9], v[10:11]
	v_fma_f64 v[10:11], v[136:137], s[22:23], -v[184:185]
	v_fma_f64 v[251:252], v[138:139], s[44:45], v[230:231]
	v_mul_f64_e32 v[200:201], s[50:51], v[120:121]
	v_fma_f64 v[253:254], v[150:151], s[44:45], -v[234:235]
	v_add_f64_e32 v[0:1], v[232:233], v[0:1]
	v_add_f64_e32 v[2:3], v[236:237], v[2:3]
	v_mul_f64_e32 v[232:233], s[52:53], v[144:145]
	v_add_f64_e32 v[4:5], v[204:205], v[4:5]
	v_mul_f64_e32 v[236:237], s[52:53], v[132:133]
	v_add_f64_e32 v[6:7], v[208:209], v[6:7]
	v_fma_f64 v[208:209], v[118:119], s[36:37], v[188:189]
	v_add_f64_e32 v[8:9], v[247:248], v[8:9]
	v_fma_f64 v[247:248], v[142:143], s[36:37], -v[192:193]
	v_add_f64_e32 v[10:11], v[10:11], v[249:250]
	v_mul_f64_e32 v[204:205], s[42:43], v[144:145]
	v_fma_f64 v[249:250], v[130:131], s[10:11], v[226:227]
	v_add_f64_e32 v[0:1], v[251:252], v[0:1]
	v_fma_f64 v[251:252], v[146:147], s[20:21], -v[200:201]
	v_add_f64_e32 v[2:3], v[253:254], v[2:3]
	v_add_f64_e32 v[4:5], v[106:107], v[4:5]
	v_fma_f64 v[106:107], v[146:147], s[10:11], -v[228:229]
	v_add_f64_e32 v[6:7], v[108:109], v[6:7]
	v_fma_f64 v[108:109], v[130:131], s[20:21], v[194:195]
	v_add_f64_e32 v[8:9], v[208:209], v[8:9]
	v_mul_f64_e32 v[208:209], s[42:43], v[132:133]
	v_add_f64_e32 v[10:11], v[247:248], v[10:11]
	v_fma_f64 v[247:248], v[138:139], s[36:37], v[232:233]
	scratch_store_b128 off, v[0:3], off     ; 16-byte Folded Spill
	v_add_f64_e32 v[4:5], v[249:250], v[4:5]
	v_fma_f64 v[249:250], v[138:139], s[4:5], v[204:205]
	v_add_f64_e32 v[6:7], v[106:107], v[6:7]
	v_fma_f64 v[106:107], v[150:151], s[36:37], -v[236:237]
	v_add_f64_e32 v[108:109], v[108:109], v[8:9]
	v_fma_f64 v[253:254], v[150:151], s[4:5], -v[208:209]
	v_add_f64_e32 v[251:252], v[251:252], v[10:11]
	v_add_f64_e32 v[8:9], v[247:248], v[4:5]
	v_add_f64_e32 v[10:11], v[106:107], v[6:7]
	v_add_f64_e32 v[0:1], v[249:250], v[108:109]
	s_delay_alu instid0(VALU_DEP_4)
	v_add_f64_e32 v[2:3], v[253:254], v[251:252]
	scratch_store_b128 off, v[0:3], off offset:16 ; 16-byte Folded Spill
	global_wb scope:SCOPE_SE
	s_wait_storecnt 0x0
	s_barrier_signal -1
	s_barrier_wait -1
	global_inv scope:SCOPE_SE
	v_cmpx_gt_u32_e32 0x68, v82
	s_cbranch_execz .LBB0_23
; %bb.22:
	v_add_f64_e32 v[32:33], v[16:17], v[32:33]
	v_add_f64_e32 v[34:35], v[18:19], v[34:35]
	s_mov_b32 s55, 0xbfeec746
	s_mov_b32 s54, s34
	;; [unrolled: 1-line block ×4, first 2 shown]
	scratch_load_b64 v[0:1], off, off offset:40 th:TH_LOAD_LU ; 8-byte Folded Reload
	v_add_f64_e32 v[32:33], v[32:33], v[40:41]
	v_add_f64_e32 v[34:35], v[34:35], v[42:43]
	v_mul_f64_e32 v[40:41], s[44:45], v[162:163]
	s_delay_alu instid0(VALU_DEP_3) | instskip(NEXT) | instid1(VALU_DEP_3)
	v_add_f64_e32 v[32:33], v[32:33], v[36:37]
	v_add_f64_e32 v[34:35], v[34:35], v[38:39]
	v_mul_f64_e32 v[38:39], s[38:39], v[162:163]
	v_mul_f64_e32 v[36:37], s[20:21], v[162:163]
	s_delay_alu instid0(VALU_DEP_4) | instskip(NEXT) | instid1(VALU_DEP_4)
	v_add_f64_e32 v[32:33], v[32:33], v[48:49]
	v_add_f64_e32 v[34:35], v[34:35], v[50:51]
	s_delay_alu instid0(VALU_DEP_4)
	v_fma_f64 v[48:49], v[158:159], s[34:35], v[38:39]
	v_fma_f64 v[38:39], v[158:159], s[54:55], v[38:39]
	;; [unrolled: 1-line block ×4, first 2 shown]
	v_add_f64_e32 v[32:33], v[32:33], v[52:53]
	v_add_f64_e32 v[34:35], v[34:35], v[54:55]
	v_mul_f64_e32 v[52:53], s[30:31], v[156:157]
	v_mul_f64_e32 v[54:55], s[52:53], v[156:157]
	s_delay_alu instid0(VALU_DEP_4) | instskip(NEXT) | instid1(VALU_DEP_4)
	v_add_f64_e32 v[32:33], v[32:33], v[64:65]
	v_add_f64_e32 v[34:35], v[34:35], v[66:67]
	s_delay_alu instid0(VALU_DEP_3) | instskip(SKIP_1) | instid1(VALU_DEP_4)
	v_fma_f64 v[64:65], v[152:153], s[36:37], v[54:55]
	v_fma_f64 v[54:55], v[152:153], s[36:37], -v[54:55]
	v_add_f64_e32 v[32:33], v[32:33], v[68:69]
	s_delay_alu instid0(VALU_DEP_4) | instskip(NEXT) | instid1(VALU_DEP_4)
	v_add_f64_e32 v[34:35], v[34:35], v[70:71]
	v_add_f64_e32 v[64:65], v[16:17], v[64:65]
	s_delay_alu instid0(VALU_DEP_4) | instskip(NEXT) | instid1(VALU_DEP_4)
	v_add_f64_e32 v[54:55], v[16:17], v[54:55]
	v_add_f64_e32 v[32:33], v[32:33], v[76:77]
	s_delay_alu instid0(VALU_DEP_4) | instskip(SKIP_1) | instid1(VALU_DEP_3)
	v_add_f64_e32 v[34:35], v[34:35], v[78:79]
	v_add_f64_e32 v[76:77], v[18:19], v[38:39]
	;; [unrolled: 1-line block ×3, first 2 shown]
	s_delay_alu instid0(VALU_DEP_3) | instskip(SKIP_1) | instid1(VALU_DEP_3)
	v_add_f64_e32 v[34:35], v[34:35], v[74:75]
	v_add_f64_e32 v[74:75], v[18:19], v[48:49]
	;; [unrolled: 1-line block ×3, first 2 shown]
	s_delay_alu instid0(VALU_DEP_3)
	v_add_f64_e32 v[34:35], v[34:35], v[62:63]
	v_mul_f64_e32 v[60:61], s[54:55], v[156:157]
	v_fma_f64 v[62:63], v[152:153], s[24:25], v[52:53]
	v_fma_f64 v[52:53], v[152:153], s[24:25], -v[52:53]
	v_add_f64_e32 v[32:33], v[32:33], v[56:57]
	v_add_f64_e32 v[34:35], v[34:35], v[58:59]
	v_mul_f64_e32 v[56:57], s[12:13], v[156:157]
	v_mul_f64_e32 v[58:59], s[48:49], v[156:157]
	v_fma_f64 v[70:71], v[152:153], s[38:39], v[60:61]
	v_fma_f64 v[60:61], v[152:153], s[38:39], -v[60:61]
	v_add_f64_e32 v[62:63], v[16:17], v[62:63]
	v_add_f64_e32 v[52:53], v[16:17], v[52:53]
	;; [unrolled: 1-line block ×5, first 2 shown]
	v_fma_f64 v[66:67], v[152:153], s[20:21], v[56:57]
	v_fma_f64 v[56:57], v[152:153], s[20:21], -v[56:57]
	v_fma_f64 v[68:69], v[152:153], s[44:45], v[58:59]
	v_fma_f64 v[58:59], v[152:153], s[44:45], -v[58:59]
	v_add_f64_e32 v[70:71], v[16:17], v[70:71]
	v_add_f64_e32 v[60:61], v[16:17], v[60:61]
	v_fma_f64 v[46:47], v[158:159], s[50:51], v[36:37]
	v_fma_f64 v[36:37], v[158:159], s[12:13], v[36:37]
	v_add_f64_e32 v[28:29], v[32:33], v[28:29]
	v_add_f64_e32 v[30:31], v[34:35], v[30:31]
	v_mul_f64_e32 v[32:33], s[24:25], v[162:163]
	v_mul_f64_e32 v[34:35], s[36:37], v[162:163]
	v_add_f64_e32 v[66:67], v[16:17], v[66:67]
	v_add_f64_e32 v[56:57], v[16:17], v[56:57]
	;; [unrolled: 1-line block ×8, first 2 shown]
	v_mul_f64_e32 v[30:31], s[4:5], v[152:153]
	v_fma_f64 v[42:43], v[158:159], s[26:27], v[32:33]
	v_mul_f64_e32 v[28:29], s[4:5], v[162:163]
	v_fma_f64 v[32:33], v[158:159], s[30:31], v[32:33]
	v_fma_f64 v[44:45], v[158:159], s[28:29], v[34:35]
	;; [unrolled: 1-line block ×3, first 2 shown]
	v_add_f64_e32 v[20:21], v[24:25], v[20:21]
	v_add_f64_e32 v[22:23], v[26:27], v[22:23]
	v_mul_f64_e32 v[24:25], s[22:23], v[162:163]
	v_mul_f64_e32 v[26:27], s[22:23], v[152:153]
	v_add_f64_e64 v[30:31], v[30:31], -v[166:167]
	v_add_f64_e32 v[42:43], v[18:19], v[42:43]
	v_add_f64_e32 v[28:29], v[168:169], v[28:29]
	;; [unrolled: 1-line block ×5, first 2 shown]
	v_mul_f64_e32 v[168:169], s[10:11], v[150:151]
	v_add_f64_e32 v[12:13], v[20:21], v[12:13]
	v_mul_f64_e32 v[20:21], s[10:11], v[162:163]
	v_add_f64_e32 v[14:15], v[22:23], v[14:15]
	;; [unrolled: 2-line block ×3, first 2 shown]
	v_add_f64_e64 v[26:27], v[26:27], -v[238:239]
	v_add_f64_e32 v[38:39], v[16:17], v[30:31]
	v_add_f64_e32 v[36:37], v[18:19], v[28:29]
	;; [unrolled: 1-line block ×3, first 2 shown]
	s_wait_alu 0xfffe
	v_mul_f64_e32 v[238:239], s[0:1], v[144:145]
	v_mul_f64_e32 v[240:241], s[40:41], v[144:145]
	v_add_f64_e32 v[20:21], v[244:245], v[20:21]
	v_add_f64_e64 v[22:23], v[22:23], -v[242:243]
	v_add_f64_e32 v[106:107], v[18:19], v[24:25]
	v_add_f64_e32 v[108:109], v[16:17], v[26:27]
	v_mul_f64_e32 v[24:25], s[36:37], v[104:105]
	v_mul_f64_e32 v[242:243], s[36:37], v[114:115]
	v_add_f64_e32 v[48:49], v[18:19], v[20:21]
	v_mul_f64_e32 v[20:21], s[44:45], v[96:97]
	v_add_f64_e32 v[78:79], v[16:17], v[22:23]
	v_mul_f64_e32 v[22:23], s[46:47], v[92:93]
	v_fma_f64 v[26:27], v[90:91], s[28:29], v[24:25]
	v_fma_f64 v[24:25], v[90:91], s[52:53], v[24:25]
	v_add_f64_e64 v[198:199], v[242:243], -v[198:199]
	v_mul_f64_e32 v[242:243], s[38:39], v[142:143]
	v_fma_f64 v[16:17], v[86:87], s[48:49], v[20:21]
	v_fma_f64 v[20:21], v[86:87], s[46:47], v[20:21]
	;; [unrolled: 1-line block ×3, first 2 shown]
	v_fma_f64 v[22:23], v[88:89], s[44:45], -v[22:23]
	v_add_f64_e32 v[214:215], v[214:215], v[242:243]
	v_add_f64_e32 v[16:17], v[16:17], v[42:43]
	;; [unrolled: 1-line block ×5, first 2 shown]
	v_mul_f64_e32 v[32:33], s[10:11], v[104:105]
	v_add_f64_e32 v[16:17], v[26:27], v[16:17]
	v_mul_f64_e32 v[26:27], s[52:53], v[94:95]
	v_add_f64_e32 v[20:21], v[24:25], v[20:21]
	s_delay_alu instid0(VALU_DEP_2) | instskip(SKIP_2) | instid1(VALU_DEP_3)
	v_fma_f64 v[28:29], v[98:99], s[36:37], v[26:27]
	v_fma_f64 v[24:25], v[98:99], s[36:37], -v[26:27]
	v_fma_f64 v[26:27], v[138:139], s[10:11], -v[238:239]
	v_add_f64_e32 v[18:19], v[28:29], v[18:19]
	v_mul_f64_e32 v[28:29], s[4:5], v[126:127]
	s_delay_alu instid0(VALU_DEP_4) | instskip(NEXT) | instid1(VALU_DEP_2)
	v_add_f64_e32 v[22:23], v[24:25], v[22:23]
	v_fma_f64 v[30:31], v[100:101], s[16:17], v[28:29]
	v_fma_f64 v[24:25], v[100:101], s[42:43], v[28:29]
	v_mul_f64_e32 v[28:29], s[22:23], v[96:97]
	s_delay_alu instid0(VALU_DEP_3) | instskip(SKIP_1) | instid1(VALU_DEP_4)
	v_add_f64_e32 v[16:17], v[30:31], v[16:17]
	v_mul_f64_e32 v[30:31], s[42:43], v[102:103]
	v_add_f64_e32 v[20:21], v[24:25], v[20:21]
	s_delay_alu instid0(VALU_DEP_2) | instskip(SKIP_2) | instid1(VALU_DEP_3)
	v_fma_f64 v[40:41], v[110:111], s[4:5], v[30:31]
	v_fma_f64 v[24:25], v[110:111], s[4:5], -v[30:31]
	v_mul_f64_e32 v[30:31], s[40:41], v[92:93]
	v_add_f64_e32 v[18:19], v[40:41], v[18:19]
	v_mul_f64_e32 v[40:41], s[20:21], v[136:137]
	s_delay_alu instid0(VALU_DEP_4) | instskip(NEXT) | instid1(VALU_DEP_2)
	v_add_f64_e32 v[22:23], v[24:25], v[22:23]
	v_fma_f64 v[42:43], v[112:113], s[50:51], v[40:41]
	v_fma_f64 v[24:25], v[112:113], s[12:13], v[40:41]
	;; [unrolled: 1-line block ×4, first 2 shown]
	s_delay_alu instid0(VALU_DEP_4) | instskip(SKIP_2) | instid1(VALU_DEP_2)
	v_add_f64_e32 v[16:17], v[42:43], v[16:17]
	v_mul_f64_e32 v[42:43], s[12:13], v[122:123]
	v_add_f64_e32 v[20:21], v[24:25], v[20:21]
	v_fma_f64 v[50:51], v[114:115], s[20:21], v[42:43]
	v_fma_f64 v[24:25], v[114:115], s[20:21], -v[42:43]
	s_delay_alu instid0(VALU_DEP_2) | instskip(SKIP_1) | instid1(VALU_DEP_3)
	v_add_f64_e32 v[18:19], v[50:51], v[18:19]
	v_mul_f64_e32 v[50:51], s[22:23], v[142:143]
	v_add_f64_e32 v[22:23], v[24:25], v[22:23]
	s_delay_alu instid0(VALU_DEP_2) | instskip(SKIP_1) | instid1(VALU_DEP_2)
	v_fma_f64 v[62:63], v[116:117], s[18:19], v[50:51]
	v_fma_f64 v[24:25], v[116:117], s[40:41], v[50:51]
	v_add_f64_e32 v[16:17], v[62:63], v[16:17]
	v_mul_f64_e32 v[62:63], s[40:41], v[134:135]
	s_delay_alu instid0(VALU_DEP_3) | instskip(NEXT) | instid1(VALU_DEP_2)
	v_add_f64_e32 v[20:21], v[24:25], v[20:21]
	v_fma_f64 v[158:159], v[118:119], s[22:23], v[62:63]
	v_fma_f64 v[24:25], v[118:119], s[22:23], -v[62:63]
	s_delay_alu instid0(VALU_DEP_2) | instskip(SKIP_1) | instid1(VALU_DEP_3)
	v_add_f64_e32 v[18:19], v[158:159], v[18:19]
	v_mul_f64_e32 v[158:159], s[38:39], v[146:147]
	v_add_f64_e32 v[22:23], v[24:25], v[22:23]
	s_delay_alu instid0(VALU_DEP_2) | instskip(SKIP_1) | instid1(VALU_DEP_2)
	v_fma_f64 v[162:163], v[120:121], s[34:35], v[158:159]
	v_fma_f64 v[24:25], v[120:121], s[54:55], v[158:159]
	v_add_f64_e32 v[16:17], v[162:163], v[16:17]
	v_mul_f64_e32 v[162:163], s[54:55], v[140:141]
	s_delay_alu instid0(VALU_DEP_3) | instskip(NEXT) | instid1(VALU_DEP_2)
	v_add_f64_e32 v[20:21], v[24:25], v[20:21]
	v_fma_f64 v[24:25], v[130:131], s[38:39], -v[162:163]
	v_fma_f64 v[166:167], v[130:131], s[38:39], v[162:163]
	s_delay_alu instid0(VALU_DEP_2) | instskip(SKIP_1) | instid1(VALU_DEP_3)
	v_add_f64_e32 v[24:25], v[24:25], v[22:23]
	v_fma_f64 v[22:23], v[132:133], s[0:1], v[168:169]
	v_add_f64_e32 v[166:167], v[166:167], v[18:19]
	v_fma_f64 v[18:19], v[132:133], s[14:15], v[168:169]
	v_mul_f64_e32 v[168:169], s[38:39], v[150:151]
	s_delay_alu instid0(VALU_DEP_4)
	v_add_f64_e32 v[22:23], v[22:23], v[20:21]
	v_add_f64_e32 v[20:21], v[26:27], v[24:25]
	v_fma_f64 v[24:25], v[86:87], s[18:19], v[28:29]
	v_fma_f64 v[26:27], v[88:89], s[22:23], v[30:31]
	;; [unrolled: 1-line block ×3, first 2 shown]
	v_fma_f64 v[30:31], v[88:89], s[22:23], -v[30:31]
	v_add_f64_e32 v[18:19], v[18:19], v[16:17]
	v_fma_f64 v[16:17], v[138:139], s[10:11], v[238:239]
	v_mul_f64_e32 v[238:239], s[54:55], v[144:145]
	v_add_f64_e32 v[24:25], v[24:25], v[44:45]
	v_add_f64_e32 v[26:27], v[26:27], v[64:65]
	;; [unrolled: 1-line block ×4, first 2 shown]
	v_mul_f64_e32 v[54:55], s[36:37], v[126:127]
	v_add_f64_e32 v[16:17], v[16:17], v[166:167]
	v_fma_f64 v[34:35], v[138:139], s[38:39], -v[238:239]
	v_add_f64_e32 v[24:25], v[40:41], v[24:25]
	v_mul_f64_e32 v[40:41], s[14:15], v[94:95]
	v_add_f64_e32 v[28:29], v[32:33], v[28:29]
	s_delay_alu instid0(VALU_DEP_2) | instskip(SKIP_1) | instid1(VALU_DEP_2)
	v_fma_f64 v[42:43], v[98:99], s[10:11], v[40:41]
	v_fma_f64 v[32:33], v[98:99], s[10:11], -v[40:41]
	v_add_f64_e32 v[26:27], v[42:43], v[26:27]
	v_mul_f64_e32 v[42:43], s[20:21], v[126:127]
	s_delay_alu instid0(VALU_DEP_3) | instskip(NEXT) | instid1(VALU_DEP_2)
	v_add_f64_e32 v[30:31], v[32:33], v[30:31]
	v_fma_f64 v[44:45], v[100:101], s[12:13], v[42:43]
	v_fma_f64 v[32:33], v[100:101], s[50:51], v[42:43]
	v_mul_f64_e32 v[42:43], s[24:25], v[126:127]
	s_delay_alu instid0(VALU_DEP_3) | instskip(SKIP_1) | instid1(VALU_DEP_4)
	v_add_f64_e32 v[24:25], v[44:45], v[24:25]
	v_mul_f64_e32 v[44:45], s[50:51], v[102:103]
	v_add_f64_e32 v[28:29], v[32:33], v[28:29]
	s_delay_alu instid0(VALU_DEP_4) | instskip(SKIP_1) | instid1(VALU_DEP_4)
	v_add_f64_e32 v[42:43], v[190:191], v[42:43]
	v_mul_f64_e32 v[190:191], s[20:21], v[104:105]
	v_fma_f64 v[50:51], v[110:111], s[20:21], v[44:45]
	v_fma_f64 v[32:33], v[110:111], s[20:21], -v[44:45]
	v_mul_f64_e32 v[44:45], s[38:39], v[96:97]
	s_delay_alu instid0(VALU_DEP_4)
	v_add_f64_e32 v[128:129], v[128:129], v[190:191]
	v_mul_f64_e32 v[190:191], s[10:11], v[96:97]
	v_add_f64_e32 v[26:27], v[50:51], v[26:27]
	v_mul_f64_e32 v[50:51], s[44:45], v[136:137]
	v_add_f64_e32 v[30:31], v[32:33], v[30:31]
	s_wait_loadcnt 0x0
	s_delay_alu instid0(VALU_DEP_4)
	v_add_f64_e32 v[190:191], v[0:1], v[190:191]
	scratch_load_b64 v[0:1], off, off offset:32 th:TH_LOAD_LU ; 8-byte Folded Reload
	v_fma_f64 v[52:53], v[112:113], s[46:47], v[50:51]
	v_fma_f64 v[32:33], v[112:113], s[48:49], v[50:51]
	v_mul_f64_e32 v[50:51], s[44:45], v[104:105]
	v_add_f64_e32 v[36:37], v[190:191], v[36:37]
	v_mul_f64_e32 v[190:191], s[38:39], v[118:119]
	v_add_f64_e32 v[24:25], v[52:53], v[24:25]
	;; [unrolled: 2-line block ×3, first 2 shown]
	v_fma_f64 v[40:41], v[90:91], s[46:47], v[50:51]
	v_add_f64_e32 v[36:37], v[128:129], v[36:37]
	v_fma_f64 v[50:51], v[90:91], s[48:49], v[50:51]
	v_add_f64_e64 v[190:191], v[190:191], -v[210:211]
	v_mul_f64_e32 v[128:129], s[44:45], v[138:139]
	v_fma_f64 v[62:63], v[114:115], s[44:45], v[52:53]
	v_fma_f64 v[32:33], v[114:115], s[44:45], -v[52:53]
	v_mul_f64_e32 v[52:53], s[48:49], v[94:95]
	v_add_f64_e32 v[36:37], v[42:43], v[36:37]
	v_mul_f64_e32 v[42:43], s[22:23], v[130:131]
	v_add_f64_e64 v[128:129], v[128:129], -v[230:231]
	v_add_f64_e32 v[26:27], v[62:63], v[26:27]
	v_mul_f64_e32 v[62:63], s[24:25], v[142:143]
	v_add_f64_e32 v[30:31], v[32:33], v[30:31]
	v_add_f64_e64 v[42:43], v[42:43], -v[220:221]
	s_delay_alu instid0(VALU_DEP_3) | instskip(SKIP_2) | instid1(VALU_DEP_3)
	v_fma_f64 v[64:65], v[116:117], s[26:27], v[62:63]
	v_fma_f64 v[32:33], v[116:117], s[30:31], v[62:63]
	v_mul_f64_e32 v[62:63], s[52:53], v[102:103]
	v_add_f64_e32 v[24:25], v[64:65], v[24:25]
	v_mul_f64_e32 v[64:65], s[30:31], v[134:135]
	s_delay_alu instid0(VALU_DEP_4) | instskip(NEXT) | instid1(VALU_DEP_2)
	v_add_f64_e32 v[28:29], v[32:33], v[28:29]
	v_fma_f64 v[158:159], v[118:119], s[24:25], v[64:65]
	v_fma_f64 v[32:33], v[118:119], s[24:25], -v[64:65]
	v_mul_f64_e32 v[64:65], s[10:11], v[136:137]
	s_delay_alu instid0(VALU_DEP_3) | instskip(SKIP_1) | instid1(VALU_DEP_4)
	v_add_f64_e32 v[26:27], v[158:159], v[26:27]
	v_mul_f64_e32 v[158:159], s[4:5], v[146:147]
	v_add_f64_e32 v[30:31], v[32:33], v[30:31]
	s_delay_alu instid0(VALU_DEP_2) | instskip(SKIP_2) | instid1(VALU_DEP_3)
	v_fma_f64 v[162:163], v[120:121], s[16:17], v[158:159]
	v_fma_f64 v[32:33], v[120:121], s[42:43], v[158:159]
	v_mul_f64_e32 v[158:159], s[4:5], v[142:143]
	v_add_f64_e32 v[24:25], v[162:163], v[24:25]
	v_mul_f64_e32 v[162:163], s[42:43], v[140:141]
	s_delay_alu instid0(VALU_DEP_4) | instskip(NEXT) | instid1(VALU_DEP_2)
	v_add_f64_e32 v[28:29], v[32:33], v[28:29]
	v_fma_f64 v[32:33], v[130:131], s[4:5], -v[162:163]
	v_fma_f64 v[166:167], v[130:131], s[4:5], v[162:163]
	v_mul_f64_e32 v[162:163], s[16:17], v[134:135]
	s_delay_alu instid0(VALU_DEP_3) | instskip(SKIP_1) | instid1(VALU_DEP_4)
	v_add_f64_e32 v[32:33], v[32:33], v[30:31]
	v_fma_f64 v[30:31], v[132:133], s[54:55], v[168:169]
	v_add_f64_e32 v[166:167], v[166:167], v[26:27]
	v_fma_f64 v[26:27], v[132:133], s[34:35], v[168:169]
	v_mul_f64_e32 v[168:169], s[30:31], v[140:141]
	s_delay_alu instid0(VALU_DEP_4)
	v_add_f64_e32 v[30:31], v[30:31], v[28:29]
	v_add_f64_e32 v[28:29], v[34:35], v[32:33]
	v_fma_f64 v[32:33], v[86:87], s[54:55], v[44:45]
	v_add_f64_e32 v[26:27], v[26:27], v[24:25]
	v_fma_f64 v[24:25], v[138:139], s[38:39], v[238:239]
	v_mul_f64_e32 v[238:239], s[22:23], v[150:151]
	v_fma_f64 v[44:45], v[86:87], s[34:35], v[44:45]
	v_add_f64_e32 v[32:33], v[32:33], v[46:47]
	v_mul_f64_e32 v[46:47], s[34:35], v[92:93]
	v_add_f64_e32 v[24:25], v[24:25], v[166:167]
	v_mul_f64_e32 v[166:167], s[24:25], v[146:147]
	v_add_f64_e32 v[44:45], v[44:45], v[72:73]
	v_mul_f64_e32 v[72:73], s[24:25], v[88:89]
	v_add_f64_e32 v[32:33], v[40:41], v[32:33]
	v_fma_f64 v[34:35], v[88:89], s[38:39], v[46:47]
	v_fma_f64 v[40:41], v[98:99], s[44:45], v[52:53]
	v_fma_f64 v[46:47], v[88:89], s[38:39], -v[46:47]
	v_add_f64_e32 v[44:45], v[50:51], v[44:45]
	v_fma_f64 v[50:51], v[98:99], s[44:45], -v[52:53]
	v_fma_f64 v[52:53], v[138:139], s[22:23], -v[240:241]
	v_add_f64_e64 v[72:73], v[72:73], -v[148:149]
	v_mul_f64_e32 v[148:149], s[20:21], v[142:143]
	v_add_f64_e32 v[34:35], v[34:35], v[66:67]
	v_mul_f64_e32 v[66:67], s[0:1], v[122:123]
	v_add_f64_e32 v[46:47], v[46:47], v[56:57]
	v_mul_f64_e32 v[56:57], s[24:25], v[96:97]
	s_delay_alu instid0(VALU_DEP_4) | instskip(SKIP_1) | instid1(VALU_DEP_4)
	v_add_f64_e32 v[34:35], v[40:41], v[34:35]
	v_fma_f64 v[40:41], v[100:101], s[28:29], v[54:55]
	v_add_f64_e32 v[46:47], v[50:51], v[46:47]
	v_fma_f64 v[50:51], v[100:101], s[52:53], v[54:55]
	v_mul_f64_e32 v[54:55], s[38:39], v[104:105]
	v_add_f64_e32 v[56:57], v[154:155], v[56:57]
	v_mul_f64_e32 v[154:155], s[12:13], v[134:135]
	v_add_f64_e32 v[32:33], v[40:41], v[32:33]
	v_fma_f64 v[40:41], v[110:111], s[36:37], v[62:63]
	v_add_f64_e32 v[44:45], v[50:51], v[44:45]
	v_fma_f64 v[50:51], v[110:111], s[36:37], -v[62:63]
	v_add_f64_e32 v[54:55], v[164:165], v[54:55]
	v_add_f64_e32 v[48:49], v[56:57], v[48:49]
	;; [unrolled: 1-line block ×3, first 2 shown]
	v_mul_f64_e32 v[62:63], s[22:23], v[114:115]
	v_mul_f64_e32 v[72:73], s[36:37], v[118:119]
	v_mul_f64_e32 v[78:79], s[18:19], v[94:95]
	v_add_f64_e32 v[34:35], v[40:41], v[34:35]
	v_fma_f64 v[40:41], v[112:113], s[14:15], v[64:65]
	v_add_f64_e32 v[46:47], v[50:51], v[46:47]
	v_fma_f64 v[50:51], v[112:113], s[0:1], v[64:65]
	v_mul_f64_e32 v[64:65], s[44:45], v[110:111]
	v_add_f64_e32 v[48:49], v[54:55], v[48:49]
	v_add_f64_e64 v[62:63], v[62:63], -v[180:181]
	v_add_f64_e64 v[72:73], v[72:73], -v[188:189]
	v_add_f64_e32 v[32:33], v[40:41], v[32:33]
	v_fma_f64 v[40:41], v[114:115], s[10:11], v[66:67]
	v_add_f64_e32 v[44:45], v[50:51], v[44:45]
	v_fma_f64 v[50:51], v[114:115], s[10:11], -v[66:67]
	v_mul_f64_e32 v[66:67], s[38:39], v[98:99]
	v_add_f64_e64 v[64:65], v[64:65], -v[170:171]
	v_add_f64_e32 v[34:35], v[40:41], v[34:35]
	v_fma_f64 v[40:41], v[116:117], s[42:43], v[158:159]
	v_add_f64_e32 v[46:47], v[50:51], v[46:47]
	v_fma_f64 v[50:51], v[116:117], s[16:17], v[158:159]
	v_add_f64_e64 v[66:67], v[66:67], -v[160:161]
	v_mul_f64_e32 v[158:159], s[52:53], v[140:141]
	v_mul_f64_e32 v[160:161], s[24:25], v[150:151]
	v_add_f64_e32 v[32:33], v[40:41], v[32:33]
	v_fma_f64 v[40:41], v[118:119], s[4:5], v[162:163]
	v_add_f64_e32 v[44:45], v[50:51], v[44:45]
	v_fma_f64 v[50:51], v[118:119], s[4:5], -v[162:163]
	v_add_f64_e32 v[54:55], v[66:67], v[56:57]
	v_mul_f64_e32 v[56:57], s[20:21], v[146:147]
	v_mul_f64_e32 v[66:67], s[16:17], v[92:93]
	;; [unrolled: 1-line block ×4, first 2 shown]
	v_add_f64_e32 v[34:35], v[40:41], v[34:35]
	v_fma_f64 v[40:41], v[120:121], s[26:27], v[166:167]
	v_add_f64_e32 v[46:47], v[50:51], v[46:47]
	v_fma_f64 v[50:51], v[120:121], s[30:31], v[166:167]
	v_add_f64_e32 v[56:57], v[200:201], v[56:57]
	s_delay_alu instid0(VALU_DEP_4) | instskip(SKIP_1) | instid1(VALU_DEP_4)
	v_add_f64_e32 v[32:33], v[40:41], v[32:33]
	v_fma_f64 v[40:41], v[130:131], s[24:25], v[168:169]
	v_add_f64_e32 v[44:45], v[50:51], v[44:45]
	v_fma_f64 v[50:51], v[130:131], s[24:25], -v[168:169]
	s_delay_alu instid0(VALU_DEP_3) | instskip(SKIP_1) | instid1(VALU_DEP_3)
	v_add_f64_e32 v[40:41], v[40:41], v[34:35]
	v_fma_f64 v[34:35], v[132:133], s[18:19], v[238:239]
	v_add_f64_e32 v[50:51], v[50:51], v[46:47]
	v_fma_f64 v[46:47], v[132:133], s[40:41], v[238:239]
	s_delay_alu instid0(VALU_DEP_3) | instskip(SKIP_1) | instid1(VALU_DEP_3)
	v_add_f64_e32 v[34:35], v[34:35], v[32:33]
	v_fma_f64 v[32:33], v[138:139], s[22:23], v[240:241]
	v_add_f64_e32 v[46:47], v[46:47], v[44:45]
	v_add_f64_e32 v[44:45], v[52:53], v[50:51]
	v_mul_f64_e32 v[52:53], s[44:45], v[126:127]
	v_mul_f64_e32 v[50:51], s[22:23], v[136:137]
	v_add_f64_e32 v[32:33], v[32:33], v[40:41]
	v_mul_f64_e32 v[40:41], s[36:37], v[136:137]
	s_delay_alu instid0(VALU_DEP_4) | instskip(NEXT) | instid1(VALU_DEP_4)
	v_add_f64_e32 v[52:53], v[174:175], v[52:53]
	v_add_f64_e32 v[50:51], v[184:185], v[50:51]
	s_delay_alu instid0(VALU_DEP_3) | instskip(SKIP_1) | instid1(VALU_DEP_4)
	v_add_f64_e32 v[40:41], v[206:207], v[40:41]
	v_mul_f64_e32 v[206:207], s[24:25], v[110:111]
	v_add_f64_e32 v[48:49], v[52:53], v[48:49]
	v_add_f64_e32 v[52:53], v[64:65], v[54:55]
	v_mul_f64_e32 v[54:55], s[20:21], v[130:131]
	v_mul_f64_e32 v[64:65], s[4:5], v[96:97]
	v_add_f64_e32 v[36:37], v[40:41], v[36:37]
	v_add_f64_e64 v[186:187], v[206:207], -v[186:187]
	v_mul_f64_e32 v[206:207], s[20:21], v[98:99]
	v_mul_f64_e32 v[40:41], s[44:45], v[150:151]
	v_add_f64_e32 v[48:49], v[50:51], v[48:49]
	v_add_f64_e32 v[50:51], v[62:63], v[52:53]
	v_mul_f64_e32 v[52:53], s[4:5], v[150:151]
	v_add_f64_e64 v[54:55], v[54:55], -v[194:195]
	v_mul_f64_e32 v[62:63], s[4:5], v[138:139]
	v_add_f64_e32 v[36:37], v[214:215], v[36:37]
	v_add_f64_e64 v[124:125], v[206:207], -v[124:125]
	v_mul_f64_e32 v[206:207], s[10:11], v[88:89]
	v_add_f64_e32 v[40:41], v[234:235], v[40:41]
	v_add_f64_e32 v[50:51], v[72:73], v[50:51]
	;; [unrolled: 1-line block ×3, first 2 shown]
	v_mul_f64_e32 v[72:73], s[22:23], v[104:105]
	v_add_f64_e64 v[62:63], v[62:63], -v[204:205]
	s_wait_loadcnt 0x0
	v_add_f64_e64 v[206:207], v[206:207], -v[0:1]
	v_mad_u32_u24 v0, 0x110, v82, 0
	v_add_f64_e32 v[54:55], v[54:55], v[50:51]
	s_delay_alu instid0(VALU_DEP_3) | instskip(NEXT) | instid1(VALU_DEP_1)
	v_add_f64_e32 v[38:39], v[206:207], v[38:39]
	v_add_f64_e32 v[38:39], v[124:125], v[38:39]
	v_mul_f64_e32 v[124:125], s[22:23], v[146:147]
	s_delay_alu instid0(VALU_DEP_2) | instskip(NEXT) | instid1(VALU_DEP_2)
	v_add_f64_e32 v[38:39], v[186:187], v[38:39]
	v_add_f64_e32 v[124:125], v[224:225], v[124:125]
	v_mul_f64_e32 v[186:187], s[24:25], v[98:99]
	s_delay_alu instid0(VALU_DEP_3) | instskip(NEXT) | instid1(VALU_DEP_3)
	v_add_f64_e32 v[38:39], v[198:199], v[38:39]
	v_add_f64_e32 v[36:37], v[124:125], v[36:37]
	v_mul_f64_e32 v[124:125], s[24:25], v[104:105]
	s_delay_alu instid0(VALU_DEP_4) | instskip(SKIP_2) | instid1(VALU_DEP_4)
	v_add_f64_e64 v[178:179], v[186:187], -v[178:179]
	v_mul_f64_e32 v[186:187], s[20:21], v[88:89]
	v_add_f64_e32 v[38:39], v[190:191], v[38:39]
	v_add_f64_e32 v[124:125], v[182:183], v[124:125]
	v_mul_f64_e32 v[182:183], s[38:39], v[110:111]
	s_delay_alu instid0(VALU_DEP_4)
	v_add_f64_e64 v[172:173], v[186:187], -v[172:173]
	v_mul_f64_e32 v[186:187], s[44:45], v[142:143]
	v_add_f64_e32 v[42:43], v[42:43], v[38:39]
	v_add_f64_e32 v[38:39], v[40:41], v[36:37]
	v_mul_f64_e32 v[40:41], s[4:5], v[136:137]
	v_add_f64_e64 v[182:183], v[182:183], -v[196:197]
	v_add_f64_e32 v[108:109], v[172:173], v[108:109]
	v_add_f64_e32 v[186:187], v[222:223], v[186:187]
	;; [unrolled: 1-line block ×3, first 2 shown]
	v_mul_f64_e32 v[128:129], s[20:21], v[96:97]
	v_mul_f64_e32 v[42:43], s[38:39], v[126:127]
	v_add_f64_e32 v[40:41], v[216:217], v[40:41]
	v_add_f64_e32 v[108:109], v[178:179], v[108:109]
	s_delay_alu instid0(VALU_DEP_4) | instskip(NEXT) | instid1(VALU_DEP_4)
	v_add_f64_e32 v[128:129], v[176:177], v[128:129]
	v_add_f64_e32 v[42:43], v[202:203], v[42:43]
	v_mul_f64_e32 v[176:177], s[4:5], v[114:115]
	s_delay_alu instid0(VALU_DEP_3) | instskip(SKIP_1) | instid1(VALU_DEP_3)
	v_add_f64_e32 v[106:107], v[128:129], v[106:107]
	v_mul_f64_e32 v[128:129], s[44:45], v[118:119]
	v_add_f64_e64 v[176:177], v[176:177], -v[212:213]
	s_delay_alu instid0(VALU_DEP_3) | instskip(SKIP_1) | instid1(VALU_DEP_4)
	v_add_f64_e32 v[106:107], v[124:125], v[106:107]
	v_mul_f64_e32 v[124:125], s[10:11], v[146:147]
	v_add_f64_e64 v[128:129], v[128:129], -v[218:219]
	s_delay_alu instid0(VALU_DEP_3) | instskip(SKIP_1) | instid1(VALU_DEP_4)
	v_add_f64_e32 v[42:43], v[42:43], v[106:107]
	v_add_f64_e32 v[106:107], v[182:183], v[108:109]
	v_add_f64_e32 v[124:125], v[228:229], v[124:125]
	v_mul_f64_e32 v[108:109], s[10:11], v[130:131]
	s_delay_alu instid0(VALU_DEP_4) | instskip(NEXT) | instid1(VALU_DEP_4)
	v_add_f64_e32 v[40:41], v[40:41], v[42:43]
	v_add_f64_e32 v[42:43], v[176:177], v[106:107]
	v_mul_f64_e32 v[106:107], s[36:37], v[150:151]
	s_delay_alu instid0(VALU_DEP_4) | instskip(NEXT) | instid1(VALU_DEP_4)
	v_add_f64_e64 v[108:109], v[108:109], -v[226:227]
	v_add_f64_e32 v[40:41], v[186:187], v[40:41]
	s_delay_alu instid0(VALU_DEP_4) | instskip(NEXT) | instid1(VALU_DEP_4)
	v_add_f64_e32 v[42:43], v[128:129], v[42:43]
	v_add_f64_e32 v[106:107], v[236:237], v[106:107]
	v_mul_f64_e32 v[128:129], s[36:37], v[138:139]
	s_delay_alu instid0(VALU_DEP_4) | instskip(NEXT) | instid1(VALU_DEP_4)
	v_add_f64_e32 v[40:41], v[124:125], v[40:41]
	v_add_f64_e32 v[108:109], v[108:109], v[42:43]
	v_mul_f64_e32 v[124:125], s[38:39], v[136:137]
	s_delay_alu instid0(VALU_DEP_4) | instskip(NEXT) | instid1(VALU_DEP_4)
	v_add_f64_e64 v[128:129], v[128:129], -v[232:233]
	v_add_f64_e32 v[42:43], v[106:107], v[40:41]
	v_mul_f64_e32 v[106:107], s[36:37], v[142:143]
	s_delay_alu instid0(VALU_DEP_3)
	v_add_f64_e32 v[40:41], v[128:129], v[108:109]
	v_mul_f64_e32 v[108:109], s[14:15], v[102:103]
	v_mul_f64_e32 v[128:129], s[54:55], v[122:123]
	ds_store_b128 v0, v[36:39] offset:32
	ds_store_b128 v0, v[40:43] offset:48
	;; [unrolled: 1-line block ×8, first 2 shown]
	v_add_f64_e32 v[106:107], v[192:193], v[106:107]
	scratch_load_b128 v[1:4], off, off      ; 16-byte Folded Reload
	v_add_f64_e32 v[48:49], v[106:107], v[48:49]
	v_mul_f64_e32 v[106:107], s[10:11], v[126:127]
	s_delay_alu instid0(VALU_DEP_2) | instskip(SKIP_1) | instid1(VALU_DEP_2)
	v_add_f64_e32 v[48:49], v[56:57], v[48:49]
	v_fma_f64 v[56:57], v[90:91], s[18:19], v[72:73]
	v_add_f64_e32 v[50:51], v[52:53], v[48:49]
	v_fma_f64 v[52:53], v[86:87], s[16:17], v[64:65]
	v_add_f64_e32 v[48:49], v[62:63], v[54:55]
	v_fma_f64 v[54:55], v[88:89], s[4:5], -v[66:67]
	v_mul_f64_e32 v[62:63], s[36:37], v[96:97]
	v_fma_f64 v[64:65], v[86:87], s[42:43], v[64:65]
	v_fma_f64 v[66:67], v[88:89], s[4:5], v[66:67]
	v_add_f64_e32 v[52:53], v[52:53], v[156:157]
	v_mul_f64_e32 v[156:157], s[36:37], v[146:147]
	v_add_f64_e32 v[54:55], v[54:55], v[58:59]
	v_add_f64_e32 v[64:65], v[64:65], v[152:153]
	;; [unrolled: 1-line block ×3, first 2 shown]
	v_fma_f64 v[68:69], v[100:101], s[0:1], v[106:107]
	v_add_f64_e32 v[52:53], v[56:57], v[52:53]
	v_fma_f64 v[56:57], v[98:99], s[22:23], -v[78:79]
	s_delay_alu instid0(VALU_DEP_1) | instskip(SKIP_1) | instid1(VALU_DEP_1)
	v_add_f64_e32 v[54:55], v[56:57], v[54:55]
	v_fma_f64 v[56:57], v[100:101], s[14:15], v[106:107]
	v_add_f64_e32 v[52:53], v[56:57], v[52:53]
	v_fma_f64 v[56:57], v[110:111], s[10:11], -v[108:109]
	s_delay_alu instid0(VALU_DEP_1) | instskip(SKIP_1) | instid1(VALU_DEP_1)
	v_add_f64_e32 v[54:55], v[56:57], v[54:55]
	;; [unrolled: 5-line block ×5, first 2 shown]
	v_fma_f64 v[54:55], v[132:133], s[30:31], v[160:161]
	v_add_f64_e32 v[54:55], v[54:55], v[52:53]
	v_fma_f64 v[52:53], v[138:139], s[24:25], -v[162:163]
	s_delay_alu instid0(VALU_DEP_1) | instskip(SKIP_2) | instid1(VALU_DEP_2)
	v_add_f64_e32 v[52:53], v[52:53], v[56:57]
	v_fma_f64 v[56:57], v[86:87], s[52:53], v[62:63]
	v_fma_f64 v[62:63], v[86:87], s[28:29], v[62:63]
	v_add_f64_e32 v[56:57], v[56:57], v[74:75]
	v_mul_f64_e32 v[74:75], s[28:29], v[92:93]
	s_delay_alu instid0(VALU_DEP_3) | instskip(NEXT) | instid1(VALU_DEP_2)
	v_add_f64_e32 v[62:63], v[62:63], v[76:77]
	v_fma_f64 v[58:59], v[88:89], s[36:37], v[74:75]
	v_fma_f64 v[74:75], v[88:89], s[36:37], -v[74:75]
	s_delay_alu instid0(VALU_DEP_2) | instskip(SKIP_1) | instid1(VALU_DEP_3)
	v_add_f64_e32 v[58:59], v[58:59], v[70:71]
	v_mul_f64_e32 v[70:71], s[4:5], v[104:105]
	v_add_f64_e32 v[60:61], v[74:75], v[60:61]
	v_fma_f64 v[74:75], v[138:139], s[20:21], -v[144:145]
	s_delay_alu instid0(VALU_DEP_3) | instskip(SKIP_1) | instid1(VALU_DEP_2)
	v_fma_f64 v[92:93], v[90:91], s[16:17], v[70:71]
	v_fma_f64 v[70:71], v[90:91], s[42:43], v[70:71]
	v_add_f64_e32 v[56:57], v[92:93], v[56:57]
	v_mul_f64_e32 v[92:93], s[42:43], v[94:95]
	s_delay_alu instid0(VALU_DEP_3) | instskip(NEXT) | instid1(VALU_DEP_2)
	v_add_f64_e32 v[62:63], v[70:71], v[62:63]
	v_fma_f64 v[94:95], v[98:99], s[4:5], v[92:93]
	v_fma_f64 v[70:71], v[98:99], s[4:5], -v[92:93]
	s_delay_alu instid0(VALU_DEP_2) | instskip(SKIP_1) | instid1(VALU_DEP_3)
	v_add_f64_e32 v[58:59], v[94:95], v[58:59]
	v_mul_f64_e32 v[94:95], s[22:23], v[126:127]
	v_add_f64_e32 v[60:61], v[70:71], v[60:61]
	s_delay_alu instid0(VALU_DEP_2) | instskip(SKIP_1) | instid1(VALU_DEP_2)
	v_fma_f64 v[96:97], v[100:101], s[40:41], v[94:95]
	v_fma_f64 v[70:71], v[100:101], s[18:19], v[94:95]
	v_add_f64_e32 v[56:57], v[96:97], v[56:57]
	v_mul_f64_e32 v[96:97], s[18:19], v[102:103]
	s_delay_alu instid0(VALU_DEP_3) | instskip(NEXT) | instid1(VALU_DEP_2)
	v_add_f64_e32 v[62:63], v[70:71], v[62:63]
	v_fma_f64 v[102:103], v[110:111], s[22:23], v[96:97]
	v_fma_f64 v[70:71], v[110:111], s[22:23], -v[96:97]
	s_delay_alu instid0(VALU_DEP_2) | instskip(SKIP_1) | instid1(VALU_DEP_3)
	v_add_f64_e32 v[58:59], v[102:103], v[58:59]
	v_mul_f64_e32 v[102:103], s[24:25], v[136:137]
	v_add_f64_e32 v[60:61], v[70:71], v[60:61]
	s_delay_alu instid0(VALU_DEP_2) | instskip(SKIP_1) | instid1(VALU_DEP_2)
	v_fma_f64 v[104:105], v[112:113], s[26:27], v[102:103]
	v_fma_f64 v[70:71], v[112:113], s[30:31], v[102:103]
	v_add_f64_e32 v[56:57], v[104:105], v[56:57]
	v_mul_f64_e32 v[104:105], s[30:31], v[122:123]
	s_delay_alu instid0(VALU_DEP_3) | instskip(NEXT) | instid1(VALU_DEP_2)
	v_add_f64_e32 v[62:63], v[70:71], v[62:63]
	v_fma_f64 v[122:123], v[114:115], s[24:25], v[104:105]
	v_fma_f64 v[70:71], v[114:115], s[24:25], -v[104:105]
	s_delay_alu instid0(VALU_DEP_2) | instskip(SKIP_1) | instid1(VALU_DEP_3)
	v_add_f64_e32 v[58:59], v[122:123], v[58:59]
	v_mul_f64_e32 v[122:123], s[10:11], v[142:143]
	v_add_f64_e32 v[60:61], v[70:71], v[60:61]
	v_mul_f64_e32 v[142:143], s[20:21], v[150:151]
	s_delay_alu instid0(VALU_DEP_3) | instskip(SKIP_1) | instid1(VALU_DEP_2)
	v_fma_f64 v[126:127], v[116:117], s[14:15], v[122:123]
	v_fma_f64 v[70:71], v[116:117], s[0:1], v[122:123]
	v_add_f64_e32 v[56:57], v[126:127], v[56:57]
	v_mul_f64_e32 v[126:127], s[0:1], v[134:135]
	s_delay_alu instid0(VALU_DEP_3) | instskip(NEXT) | instid1(VALU_DEP_2)
	v_add_f64_e32 v[62:63], v[70:71], v[62:63]
	v_fma_f64 v[134:135], v[118:119], s[10:11], v[126:127]
	v_fma_f64 v[70:71], v[118:119], s[10:11], -v[126:127]
	s_delay_alu instid0(VALU_DEP_2) | instskip(SKIP_1) | instid1(VALU_DEP_3)
	v_add_f64_e32 v[58:59], v[134:135], v[58:59]
	v_mul_f64_e32 v[134:135], s[44:45], v[146:147]
	v_add_f64_e32 v[60:61], v[70:71], v[60:61]
	s_delay_alu instid0(VALU_DEP_2) | instskip(SKIP_1) | instid1(VALU_DEP_2)
	v_fma_f64 v[136:137], v[120:121], s[46:47], v[134:135]
	v_fma_f64 v[70:71], v[120:121], s[48:49], v[134:135]
	v_add_f64_e32 v[56:57], v[136:137], v[56:57]
	v_mul_f64_e32 v[136:137], s[48:49], v[140:141]
	s_delay_alu instid0(VALU_DEP_3) | instskip(NEXT) | instid1(VALU_DEP_2)
	v_add_f64_e32 v[62:63], v[70:71], v[62:63]
	v_fma_f64 v[70:71], v[130:131], s[44:45], -v[136:137]
	v_fma_f64 v[140:141], v[130:131], s[44:45], v[136:137]
	s_delay_alu instid0(VALU_DEP_2) | instskip(SKIP_1) | instid1(VALU_DEP_3)
	v_add_f64_e32 v[60:61], v[70:71], v[60:61]
	v_fma_f64 v[70:71], v[132:133], s[12:13], v[142:143]
	v_add_f64_e32 v[140:141], v[140:141], v[58:59]
	v_fma_f64 v[58:59], v[132:133], s[50:51], v[142:143]
	s_delay_alu instid0(VALU_DEP_4) | instskip(NEXT) | instid1(VALU_DEP_4)
	v_add_f64_e32 v[60:61], v[74:75], v[60:61]
	v_add_f64_e32 v[62:63], v[70:71], v[62:63]
	s_wait_loadcnt 0x0
	ds_store_b128 v0, v[1:4] offset:240
	ds_store_b128 v0, v[32:35] offset:176
	;; [unrolled: 1-line block ×4, first 2 shown]
	scratch_load_b128 v[1:4], off, off offset:16 ; 16-byte Folded Reload
	v_fma_f64 v[70:71], v[90:91], s[40:41], v[72:73]
	v_fma_f64 v[72:73], v[98:99], s[22:23], v[78:79]
	v_add_f64_e32 v[58:59], v[58:59], v[56:57]
	v_fma_f64 v[56:57], v[138:139], s[20:21], v[144:145]
	s_delay_alu instid0(VALU_DEP_4)
	v_add_f64_e32 v[64:65], v[70:71], v[64:65]
	v_fma_f64 v[70:71], v[110:111], s[10:11], v[108:109]
	v_add_f64_e32 v[66:67], v[72:73], v[66:67]
	v_fma_f64 v[72:73], v[112:113], s[34:35], v[124:125]
	v_add_f64_e32 v[56:57], v[56:57], v[140:141]
	v_add_f64_e32 v[64:65], v[68:69], v[64:65]
	v_fma_f64 v[68:69], v[114:115], s[38:39], v[128:129]
	v_add_f64_e32 v[66:67], v[70:71], v[66:67]
	v_fma_f64 v[70:71], v[116:117], s[50:51], v[148:149]
	s_delay_alu instid0(VALU_DEP_4) | instskip(SKIP_1) | instid1(VALU_DEP_4)
	v_add_f64_e32 v[64:65], v[72:73], v[64:65]
	v_fma_f64 v[72:73], v[118:119], s[20:21], v[154:155]
	v_add_f64_e32 v[66:67], v[68:69], v[66:67]
	v_fma_f64 v[68:69], v[120:121], s[28:29], v[156:157]
	s_delay_alu instid0(VALU_DEP_4) | instskip(SKIP_1) | instid1(VALU_DEP_4)
	;; [unrolled: 5-line block ×3, first 2 shown]
	v_add_f64_e32 v[64:65], v[68:69], v[64:65]
	v_fma_f64 v[68:69], v[138:139], s[24:25], v[162:163]
	v_add_f64_e32 v[70:71], v[70:71], v[66:67]
	s_delay_alu instid0(VALU_DEP_3) | instskip(NEXT) | instid1(VALU_DEP_2)
	v_add_f64_e32 v[66:67], v[72:73], v[64:65]
	v_add_f64_e32 v[64:65], v[68:69], v[70:71]
	s_wait_loadcnt 0x0
	ds_store_b128 v0, v[1:4] offset:208
	ds_store_b128 v0, v[56:59] offset:192
	;; [unrolled: 1-line block ×3, first 2 shown]
	ds_store_b128 v0, v[12:15]
	ds_store_b128 v0, v[64:67] offset:256
.LBB0_23:
	s_or_b32 exec_lo, exec_lo, s33
	v_and_b32_e32 v0, 0xff, v82
	global_wb scope:SCOPE_SE
	s_wait_dscnt 0x0
	s_barrier_signal -1
	s_barrier_wait -1
	global_inv scope:SCOPE_SE
	v_mul_lo_u16 v0, 0xf1, v0
	s_mov_b32 s22, 0x24c2f84
	s_mov_b32 s23, 0xbfe5384d
	;; [unrolled: 1-line block ×4, first 2 shown]
	v_lshrrev_b16 v83, 12, v0
	s_mov_b32 s18, 0x2ef20147
	s_mov_b32 s4, 0xd0032e0c
	s_mov_b32 s28, 0x4bc48dbf
	s_mov_b32 s21, 0xbfddbe06
	v_mul_lo_u16 v0, v83, 17
	s_mov_b32 s20, 0x4267c47c
	s_mov_b32 s25, 0xbfea55e2
	;; [unrolled: 1-line block ×4, first 2 shown]
	v_sub_nc_u16 v0, v82, v0
	s_mov_b32 s5, 0xbfe7f3cc
	s_mov_b32 s29, 0xbfcea1e5
	;; [unrolled: 1-line block ×4, first 2 shown]
	v_and_b32_e32 v100, 0xff, v0
	s_mov_b32 s14, 0xebaa3ed8
	s_mov_b32 s10, 0xb2365da1
	;; [unrolled: 1-line block ×4, first 2 shown]
	v_mul_u32_u24_e32 v0, 12, v100
	s_mov_b32 s13, 0x3fe22d96
	s_mov_b32 s15, 0x3fbedb7d
	;; [unrolled: 1-line block ×4, first 2 shown]
	v_lshlrev_b32_e32 v62, 4, v0
	s_mov_b32 s35, 0x3fe5384d
	s_wait_alu 0xfffe
	s_mov_b32 s34, s22
	s_mov_b32 s31, 0x3fefc445
	;; [unrolled: 1-line block ×3, first 2 shown]
	s_clause 0x3
	global_load_b128 v[12:15], v62, s[8:9]
	global_load_b128 v[24:27], v62, s[8:9] offset:176
	global_load_b128 v[16:19], v62, s[8:9] offset:16
	;; [unrolled: 1-line block ×3, first 2 shown]
	ds_load_b128 v[28:31], v246 offset:2176
	ds_load_b128 v[90:93], v246
	ds_load_b128 v[34:37], v246 offset:26112
	s_mov_b32 s37, 0x3fedeba7
	s_mov_b32 s36, s18
	s_wait_loadcnt_dscnt 0x302
	v_mul_f64_e32 v[32:33], v[30:31], v[14:15]
	v_mul_f64_e32 v[14:15], v[28:29], v[14:15]
	s_wait_loadcnt_dscnt 0x200
	v_mul_f64_e32 v[38:39], v[34:35], v[26:27]
	v_mul_f64_e32 v[40:41], v[36:37], v[26:27]
	s_delay_alu instid0(VALU_DEP_4) | instskip(NEXT) | instid1(VALU_DEP_4)
	v_fma_f64 v[76:77], v[28:29], v[12:13], -v[32:33]
	v_fma_f64 v[30:31], v[30:31], v[12:13], v[14:15]
	ds_load_b128 v[12:15], v246 offset:4352
	ds_load_b128 v[26:29], v246 offset:6528
	;; [unrolled: 1-line block ×3, first 2 shown]
	v_fma_f64 v[34:35], v[34:35], v[24:25], -v[40:41]
	v_fma_f64 v[32:33], v[36:37], v[24:25], v[38:39]
	s_wait_loadcnt_dscnt 0x102
	v_mul_f64_e32 v[42:43], v[14:15], v[18:19]
	v_mul_f64_e32 v[18:19], v[12:13], v[18:19]
	s_delay_alu instid0(VALU_DEP_3) | instskip(NEXT) | instid1(VALU_DEP_3)
	v_add_f64_e32 v[107:108], v[30:31], v[32:33]
	v_fma_f64 v[40:41], v[12:13], v[16:17], -v[42:43]
	s_delay_alu instid0(VALU_DEP_3) | instskip(SKIP_4) | instid1(VALU_DEP_2)
	v_fma_f64 v[42:43], v[14:15], v[16:17], v[18:19]
	ds_load_b128 v[12:15], v246 offset:21760
	s_wait_loadcnt_dscnt 0x1
	v_mul_f64_e32 v[16:17], v[44:45], v[22:23]
	v_mul_f64_e32 v[18:19], v[46:47], v[22:23]
	v_fma_f64 v[36:37], v[46:47], v[20:21], v[16:17]
	s_delay_alu instid0(VALU_DEP_2)
	v_fma_f64 v[38:39], v[44:45], v[20:21], -v[18:19]
	s_clause 0x1
	global_load_b128 v[16:19], v62, s[8:9] offset:32
	global_load_b128 v[20:23], v62, s[8:9] offset:48
	v_add_f64_e64 v[135:136], v[42:43], -v[36:37]
	v_add_f64_e64 v[137:138], v[40:41], -v[38:39]
	s_delay_alu instid0(VALU_DEP_2) | instskip(SKIP_1) | instid1(VALU_DEP_3)
	v_mul_f64_e32 v[185:186], s[18:19], v[135:136]
	v_mul_f64_e32 v[203:204], s[28:29], v[135:136]
	;; [unrolled: 1-line block ×3, first 2 shown]
	s_wait_alu 0xfffe
	v_mul_f64_e32 v[223:224], s[34:35], v[135:136]
	v_mul_f64_e32 v[225:226], s[34:35], v[137:138]
	;; [unrolled: 1-line block ×3, first 2 shown]
	s_wait_loadcnt 0x1
	v_mul_f64_e32 v[24:25], v[28:29], v[18:19]
	v_mul_f64_e32 v[18:19], v[26:27], v[18:19]
	s_delay_alu instid0(VALU_DEP_2) | instskip(NEXT) | instid1(VALU_DEP_2)
	v_fma_f64 v[48:49], v[26:27], v[16:17], -v[24:25]
	v_fma_f64 v[50:51], v[28:29], v[16:17], v[18:19]
	s_clause 0x1
	global_load_b128 v[16:19], v62, s[8:9] offset:144
	global_load_b128 v[24:27], v62, s[8:9] offset:128
	s_wait_loadcnt_dscnt 0x100
	v_mul_f64_e32 v[28:29], v[14:15], v[18:19]
	s_delay_alu instid0(VALU_DEP_1) | instskip(SKIP_1) | instid1(VALU_DEP_2)
	v_fma_f64 v[44:45], v[12:13], v[16:17], -v[28:29]
	v_mul_f64_e32 v[12:13], v[12:13], v[18:19]
	v_add_f64_e64 v[143:144], v[48:49], -v[44:45]
	s_delay_alu instid0(VALU_DEP_2)
	v_fma_f64 v[46:47], v[14:15], v[16:17], v[12:13]
	ds_load_b128 v[12:15], v246 offset:8704
	ds_load_b128 v[16:19], v246 offset:10880
	s_wait_dscnt 0x1
	v_mul_f64_e32 v[28:29], v[14:15], v[22:23]
	v_mul_f64_e32 v[147:148], s[26:27], v[143:144]
	v_add_f64_e64 v[139:140], v[50:51], -v[46:47]
	v_add_f64_e32 v[145:146], v[50:51], v[46:47]
	v_mul_f64_e32 v[189:190], s[28:29], v[143:144]
	v_mul_f64_e32 v[209:210], s[36:37], v[143:144]
	;; [unrolled: 1-line block ×3, first 2 shown]
	v_fma_f64 v[56:57], v[12:13], v[20:21], -v[28:29]
	v_mul_f64_e32 v[12:13], v[12:13], v[22:23]
	v_mul_f64_e32 v[141:142], s[26:27], v[139:140]
	;; [unrolled: 1-line block ×5, first 2 shown]
	v_fma_f64 v[58:59], v[14:15], v[20:21], v[12:13]
	ds_load_b128 v[12:15], v246 offset:19584
	ds_load_b128 v[20:23], v246 offset:17408
	s_wait_loadcnt_dscnt 0x1
	v_mul_f64_e32 v[28:29], v[14:15], v[26:27]
	s_delay_alu instid0(VALU_DEP_1) | instskip(SKIP_1) | instid1(VALU_DEP_2)
	v_fma_f64 v[52:53], v[12:13], v[24:25], -v[28:29]
	v_mul_f64_e32 v[12:13], v[12:13], v[26:27]
	v_add_f64_e32 v[151:152], v[56:57], v[52:53]
	s_delay_alu instid0(VALU_DEP_2)
	v_fma_f64 v[54:55], v[14:15], v[24:25], v[12:13]
	s_clause 0x1
	global_load_b128 v[12:15], v62, s[8:9] offset:64
	global_load_b128 v[24:27], v62, s[8:9] offset:80
	v_add_f64_e64 v[155:156], v[56:57], -v[52:53]
	v_add_f64_e64 v[149:150], v[58:59], -v[54:55]
	v_add_f64_e32 v[157:158], v[58:59], v[54:55]
	s_delay_alu instid0(VALU_DEP_3)
	v_mul_f64_e32 v[159:160], s[18:19], v[155:156]
	v_mul_f64_e32 v[193:194], s[34:35], v[155:156]
	;; [unrolled: 1-line block ×6, first 2 shown]
	s_wait_loadcnt 0x1
	v_mul_f64_e32 v[28:29], v[18:19], v[14:15]
	v_mul_f64_e32 v[14:15], v[16:17], v[14:15]
	s_delay_alu instid0(VALU_DEP_2) | instskip(NEXT) | instid1(VALU_DEP_2)
	v_fma_f64 v[60:61], v[16:17], v[12:13], -v[28:29]
	v_fma_f64 v[64:65], v[18:19], v[12:13], v[14:15]
	s_clause 0x1
	global_load_b128 v[12:15], v62, s[8:9] offset:112
	global_load_b128 v[16:19], v62, s[8:9] offset:96
	s_wait_loadcnt_dscnt 0x100
	v_mul_f64_e32 v[28:29], v[22:23], v[14:15]
	v_mul_f64_e32 v[14:15], v[20:21], v[14:15]
	s_delay_alu instid0(VALU_DEP_2) | instskip(NEXT) | instid1(VALU_DEP_2)
	v_fma_f64 v[62:63], v[20:21], v[12:13], -v[28:29]
	v_fma_f64 v[66:67], v[22:23], v[12:13], v[14:15]
	ds_load_b128 v[12:15], v246 offset:13056
	ds_load_b128 v[20:23], v246 offset:15232
	global_wb scope:SCOPE_SE
	s_wait_loadcnt_dscnt 0x0
	s_barrier_signal -1
	s_barrier_wait -1
	global_inv scope:SCOPE_SE
	v_mul_f64_e32 v[28:29], v[14:15], v[26:27]
	v_add_f64_e32 v[163:164], v[60:61], v[62:63]
	v_add_f64_e64 v[161:162], v[64:65], -v[66:67]
	v_add_f64_e64 v[167:168], v[60:61], -v[62:63]
	v_add_f64_e32 v[169:170], v[64:65], v[66:67]
	v_fma_f64 v[68:69], v[12:13], v[24:25], -v[28:29]
	v_mul_f64_e32 v[12:13], v[12:13], v[26:27]
	v_mul_f64_e32 v[165:166], s[22:23], v[161:162]
	;; [unrolled: 1-line block ×7, first 2 shown]
	v_fma_f64 v[70:71], v[14:15], v[24:25], v[12:13]
	v_mul_f64_e32 v[12:13], v[22:23], v[18:19]
	v_add_f64_e32 v[24:25], v[76:77], v[34:35]
	s_delay_alu instid0(VALU_DEP_2) | instskip(SKIP_1) | instid1(VALU_DEP_2)
	v_fma_f64 v[72:73], v[20:21], v[16:17], -v[12:13]
	v_mul_f64_e32 v[12:13], v[20:21], v[18:19]
	v_add_f64_e32 v[175:176], v[68:69], v[72:73]
	s_delay_alu instid0(VALU_DEP_2) | instskip(SKIP_2) | instid1(VALU_DEP_3)
	v_fma_f64 v[74:75], v[22:23], v[16:17], v[12:13]
	v_add_f64_e64 v[12:13], v[30:31], -v[32:33]
	v_add_f64_e64 v[179:180], v[68:69], -v[72:73]
	;; [unrolled: 1-line block ×3, first 2 shown]
	s_delay_alu instid0(VALU_DEP_3)
	v_mul_f64_e32 v[22:23], s[22:23], v[12:13]
	v_mul_f64_e32 v[14:15], s[20:21], v[12:13]
	;; [unrolled: 1-line block ×6, first 2 shown]
	v_add_f64_e32 v[181:182], v[70:71], v[74:75]
	v_mul_f64_e32 v[183:184], s[28:29], v[179:180]
	v_mul_f64_e32 v[221:222], s[22:23], v[179:180]
	;; [unrolled: 1-line block ×3, first 2 shown]
	v_fma_f64 v[98:99], v[24:25], s[4:5], -v[22:23]
	v_fma_f64 v[101:102], v[24:25], s[4:5], v[22:23]
	v_add_f64_e64 v[22:23], v[76:77], -v[34:35]
	v_fma_f64 v[26:27], v[24:25], s[16:17], -v[14:15]
	v_fma_f64 v[14:15], v[24:25], s[16:17], v[14:15]
	v_fma_f64 v[28:29], v[24:25], s[12:13], -v[16:17]
	v_fma_f64 v[16:17], v[24:25], s[12:13], v[16:17]
	;; [unrolled: 2-line block ×5, first 2 shown]
	v_add_f64_e32 v[76:77], v[90:91], v[76:77]
	v_mul_f64_e32 v[219:220], s[22:23], v[173:174]
	v_mul_f64_e32 v[4:5], s[18:19], v[173:174]
	v_add_f64_e32 v[129:130], v[90:91], v[101:102]
	v_mul_f64_e32 v[24:25], s[20:21], v[22:23]
	v_mul_f64_e32 v[78:79], s[24:25], v[22:23]
	;; [unrolled: 1-line block ×6, first 2 shown]
	v_add_f64_e32 v[14:15], v[90:91], v[14:15]
	v_add_f64_e32 v[127:128], v[90:91], v[28:29]
	s_mov_b32 s21, 0x3fddbe06
	s_mov_b32 s29, 0x3fcea1e5
	s_wait_alu 0xfffe
	v_mul_f64_e32 v[199:200], s[20:21], v[173:174]
	v_mul_f64_e32 v[201:202], s[20:21], v[179:180]
	v_mul_f64_e32 v[211:212], s[20:21], v[149:150]
	v_mul_f64_e32 v[213:214], s[20:21], v[155:156]
	v_mul_f64_e32 v[227:228], s[20:21], v[139:140]
	v_mul_f64_e32 v[229:230], s[20:21], v[143:144]
	v_mul_f64_e32 v[235:236], s[28:29], v[161:162]
	v_mul_f64_e32 v[237:238], s[28:29], v[167:168]
	s_mov_b32 s27, 0x3fea55e2
	s_mov_b32 s26, s24
	v_mul_f64_e32 v[251:252], s[28:29], v[149:150]
	s_wait_alu 0xfffe
	v_mul_f64_e32 v[239:240], s[26:27], v[173:174]
	v_mul_f64_e32 v[241:242], s[26:27], v[179:180]
	;; [unrolled: 1-line block ×4, first 2 shown]
	v_fma_f64 v[6:7], v[175:176], s[10:11], -v[4:5]
	v_fma_f64 v[4:5], v[175:176], s[10:11], v[4:5]
	v_fma_f64 v[109:110], v[107:108], s[16:17], v[24:25]
	v_fma_f64 v[24:25], v[107:108], s[16:17], -v[24:25]
	v_fma_f64 v[111:112], v[107:108], s[12:13], v[78:79]
	v_fma_f64 v[113:114], v[107:108], s[12:13], -v[78:79]
	;; [unrolled: 2-line block ×6, first 2 shown]
	v_add_f64_e32 v[78:79], v[92:93], v[30:31]
	v_add_f64_e32 v[86:87], v[90:91], v[26:27]
	;; [unrolled: 1-line block ×8, first 2 shown]
	v_mul_f64_e32 v[96:97], s[24:25], v[137:138]
	v_fma_f64 v[2:3], v[163:164], s[16:17], -v[0:1]
	v_fma_f64 v[0:1], v[163:164], s[16:17], v[0:1]
	v_add_f64_e32 v[88:89], v[92:93], v[109:110]
	v_add_f64_e32 v[109:110], v[92:93], v[24:25]
	;; [unrolled: 1-line block ×16, first 2 shown]
	v_mul_f64_e32 v[92:93], s[24:25], v[135:136]
	v_add_f64_e32 v[98:99], v[48:49], v[44:45]
	s_delay_alu instid0(VALU_DEP_2) | instskip(NEXT) | instid1(VALU_DEP_2)
	v_fma_f64 v[12:13], v[90:91], s[12:13], v[92:93]
	v_fma_f64 v[101:102], v[98:99], s[14:15], v[141:142]
	v_fma_f64 v[105:106], v[98:99], s[0:1], -v[187:188]
	v_fma_f64 v[107:108], v[98:99], s[10:11], -v[207:208]
	s_delay_alu instid0(VALU_DEP_4) | instskip(SKIP_1) | instid1(VALU_DEP_2)
	v_add_f64_e32 v[12:13], v[12:13], v[14:15]
	v_fma_f64 v[14:15], v[94:95], s[12:13], -v[96:97]
	v_add_f64_e32 v[12:13], v[101:102], v[12:13]
	s_delay_alu instid0(VALU_DEP_2) | instskip(SKIP_2) | instid1(VALU_DEP_2)
	v_add_f64_e32 v[14:15], v[14:15], v[109:110]
	v_fma_f64 v[101:102], v[145:146], s[14:15], -v[147:148]
	v_fma_f64 v[109:110], v[98:99], s[16:17], -v[227:228]
	v_add_f64_e32 v[14:15], v[101:102], v[14:15]
	v_fma_f64 v[101:102], v[151:152], s[10:11], v[153:154]
	s_delay_alu instid0(VALU_DEP_1) | instskip(SKIP_1) | instid1(VALU_DEP_1)
	v_add_f64_e32 v[12:13], v[101:102], v[12:13]
	v_fma_f64 v[101:102], v[157:158], s[10:11], -v[159:160]
	v_add_f64_e32 v[14:15], v[101:102], v[14:15]
	v_fma_f64 v[101:102], v[163:164], s[4:5], v[165:166]
	s_delay_alu instid0(VALU_DEP_1) | instskip(SKIP_1) | instid1(VALU_DEP_1)
	v_add_f64_e32 v[12:13], v[101:102], v[12:13]
	;; [unrolled: 5-line block ×3, first 2 shown]
	v_fma_f64 v[101:102], v[181:182], s[0:1], -v[183:184]
	v_add_f64_e32 v[14:15], v[101:102], v[14:15]
	v_fma_f64 v[101:102], v[90:91], s[10:11], -v[185:186]
	s_delay_alu instid0(VALU_DEP_1) | instskip(SKIP_1) | instid1(VALU_DEP_2)
	v_add_f64_e32 v[101:102], v[101:102], v[127:128]
	v_mul_f64_e32 v[127:128], s[18:19], v[137:138]
	v_add_f64_e32 v[101:102], v[105:106], v[101:102]
	s_delay_alu instid0(VALU_DEP_2) | instskip(SKIP_1) | instid1(VALU_DEP_2)
	v_fma_f64 v[103:104], v[94:95], s[10:11], v[127:128]
	v_fma_f64 v[105:106], v[145:146], s[0:1], v[189:190]
	v_add_f64_e32 v[103:104], v[103:104], v[111:112]
	s_delay_alu instid0(VALU_DEP_1) | instskip(SKIP_1) | instid1(VALU_DEP_1)
	v_add_f64_e32 v[103:104], v[105:106], v[103:104]
	v_fma_f64 v[105:106], v[151:152], s[4:5], -v[191:192]
	v_add_f64_e32 v[101:102], v[105:106], v[101:102]
	v_fma_f64 v[105:106], v[157:158], s[4:5], v[193:194]
	s_delay_alu instid0(VALU_DEP_1) | instskip(SKIP_1) | instid1(VALU_DEP_1)
	v_add_f64_e32 v[103:104], v[105:106], v[103:104]
	v_fma_f64 v[105:106], v[163:164], s[14:15], -v[195:196]
	v_add_f64_e32 v[101:102], v[105:106], v[101:102]
	v_fma_f64 v[105:106], v[169:170], s[14:15], v[197:198]
	;; [unrolled: 5-line block ×4, first 2 shown]
	s_delay_alu instid0(VALU_DEP_2) | instskip(NEXT) | instid1(VALU_DEP_2)
	v_add_f64_e32 v[16:17], v[107:108], v[16:17]
	v_add_f64_e32 v[105:106], v[105:106], v[113:114]
	v_fma_f64 v[107:108], v[145:146], s[10:11], v[209:210]
	v_fma_f64 v[113:114], v[94:95], s[14:15], v[243:244]
	s_delay_alu instid0(VALU_DEP_2) | instskip(SKIP_1) | instid1(VALU_DEP_3)
	v_add_f64_e32 v[105:106], v[107:108], v[105:106]
	v_fma_f64 v[107:108], v[151:152], s[16:17], -v[211:212]
	v_add_f64_e32 v[113:114], v[113:114], v[119:120]
	s_delay_alu instid0(VALU_DEP_2) | instskip(SKIP_1) | instid1(VALU_DEP_1)
	v_add_f64_e32 v[16:17], v[107:108], v[16:17]
	v_fma_f64 v[107:108], v[157:158], s[16:17], v[213:214]
	v_add_f64_e32 v[105:106], v[107:108], v[105:106]
	v_fma_f64 v[107:108], v[163:164], s[12:13], -v[215:216]
	s_delay_alu instid0(VALU_DEP_1) | instskip(SKIP_1) | instid1(VALU_DEP_1)
	v_add_f64_e32 v[16:17], v[107:108], v[16:17]
	v_fma_f64 v[107:108], v[169:170], s[12:13], v[217:218]
	v_add_f64_e32 v[107:108], v[107:108], v[105:106]
	v_fma_f64 v[105:106], v[175:176], s[4:5], -v[219:220]
	s_delay_alu instid0(VALU_DEP_1) | instskip(SKIP_1) | instid1(VALU_DEP_1)
	v_add_f64_e32 v[105:106], v[105:106], v[16:17]
	v_fma_f64 v[16:17], v[181:182], s[4:5], v[221:222]
	v_add_f64_e32 v[107:108], v[16:17], v[107:108]
	v_fma_f64 v[16:17], v[90:91], s[4:5], -v[223:224]
	s_delay_alu instid0(VALU_DEP_1) | instskip(SKIP_1) | instid1(VALU_DEP_2)
	v_add_f64_e32 v[16:17], v[16:17], v[18:19]
	v_fma_f64 v[18:19], v[94:95], s[4:5], v[225:226]
	v_add_f64_e32 v[16:17], v[109:110], v[16:17]
	s_delay_alu instid0(VALU_DEP_2) | instskip(SKIP_2) | instid1(VALU_DEP_2)
	v_add_f64_e32 v[18:19], v[18:19], v[115:116]
	v_fma_f64 v[109:110], v[145:146], s[16:17], v[229:230]
	v_fma_f64 v[115:116], v[98:99], s[12:13], -v[247:248]
	v_add_f64_e32 v[18:19], v[109:110], v[18:19]
	v_fma_f64 v[109:110], v[151:152], s[14:15], -v[231:232]
	s_delay_alu instid0(VALU_DEP_1) | instskip(SKIP_1) | instid1(VALU_DEP_1)
	v_add_f64_e32 v[16:17], v[109:110], v[16:17]
	v_fma_f64 v[109:110], v[157:158], s[14:15], v[233:234]
	v_add_f64_e32 v[18:19], v[109:110], v[18:19]
	v_fma_f64 v[109:110], v[163:164], s[0:1], -v[235:236]
	s_delay_alu instid0(VALU_DEP_1) | instskip(SKIP_1) | instid1(VALU_DEP_1)
	v_add_f64_e32 v[16:17], v[109:110], v[16:17]
	v_fma_f64 v[109:110], v[169:170], s[0:1], v[237:238]
	;; [unrolled: 5-line block ×3, first 2 shown]
	v_add_f64_e32 v[111:112], v[16:17], v[18:19]
	v_mul_f64_e32 v[16:17], s[30:31], v[135:136]
	s_delay_alu instid0(VALU_DEP_1) | instskip(NEXT) | instid1(VALU_DEP_1)
	v_fma_f64 v[18:19], v[90:91], s[14:15], -v[16:17]
	v_add_f64_e32 v[18:19], v[18:19], v[117:118]
	s_delay_alu instid0(VALU_DEP_1) | instskip(SKIP_1) | instid1(VALU_DEP_1)
	v_add_f64_e32 v[18:19], v[115:116], v[18:19]
	v_fma_f64 v[115:116], v[145:146], s[12:13], v[249:250]
	v_add_f64_e32 v[113:114], v[115:116], v[113:114]
	v_fma_f64 v[115:116], v[151:152], s[0:1], -v[251:252]
	s_delay_alu instid0(VALU_DEP_1) | instskip(SKIP_1) | instid1(VALU_DEP_2)
	v_add_f64_e32 v[18:19], v[115:116], v[18:19]
	v_fma_f64 v[115:116], v[157:158], s[0:1], v[253:254]
	v_add_f64_e32 v[2:3], v[2:3], v[18:19]
	v_mul_f64_e32 v[18:19], s[20:21], v[167:168]
	s_delay_alu instid0(VALU_DEP_3) | instskip(NEXT) | instid1(VALU_DEP_2)
	v_add_f64_e32 v[113:114], v[115:116], v[113:114]
	v_fma_f64 v[115:116], v[169:170], s[16:17], v[18:19]
	s_delay_alu instid0(VALU_DEP_1) | instskip(SKIP_2) | instid1(VALU_DEP_1)
	v_add_f64_e32 v[115:116], v[115:116], v[113:114]
	v_add_f64_e32 v[113:114], v[6:7], v[2:3]
	v_mul_f64_e32 v[2:3], s[18:19], v[179:180]
	v_fma_f64 v[6:7], v[181:182], s[10:11], v[2:3]
	v_fma_f64 v[2:3], v[181:182], s[10:11], -v[2:3]
	s_delay_alu instid0(VALU_DEP_2) | instskip(SKIP_1) | instid1(VALU_DEP_1)
	v_add_f64_e32 v[115:116], v[6:7], v[115:116]
	v_mul_f64_e32 v[6:7], s[20:21], v[135:136]
	v_fma_f64 v[117:118], v[90:91], s[16:17], -v[6:7]
	v_fma_f64 v[6:7], v[90:91], s[16:17], v[6:7]
	s_delay_alu instid0(VALU_DEP_2) | instskip(SKIP_1) | instid1(VALU_DEP_3)
	v_add_f64_e32 v[117:118], v[117:118], v[121:122]
	v_mul_f64_e32 v[121:122], s[20:21], v[137:138]
	v_add_f64_e32 v[6:7], v[6:7], v[125:126]
	s_delay_alu instid0(VALU_DEP_2) | instskip(SKIP_1) | instid1(VALU_DEP_2)
	v_fma_f64 v[119:120], v[94:95], s[16:17], v[121:122]
	v_fma_f64 v[121:122], v[94:95], s[16:17], -v[121:122]
	v_add_f64_e32 v[119:120], v[119:120], v[123:124]
	v_mul_f64_e32 v[123:124], s[22:23], v[139:140]
	s_delay_alu instid0(VALU_DEP_3) | instskip(NEXT) | instid1(VALU_DEP_2)
	v_add_f64_e32 v[121:122], v[121:122], v[133:134]
	v_fma_f64 v[135:136], v[98:99], s[4:5], -v[123:124]
	v_fma_f64 v[123:124], v[98:99], s[4:5], v[123:124]
	s_delay_alu instid0(VALU_DEP_2) | instskip(SKIP_1) | instid1(VALU_DEP_3)
	v_add_f64_e32 v[117:118], v[135:136], v[117:118]
	v_mul_f64_e32 v[135:136], s[22:23], v[143:144]
	v_add_f64_e32 v[6:7], v[123:124], v[6:7]
	s_delay_alu instid0(VALU_DEP_2) | instskip(SKIP_1) | instid1(VALU_DEP_2)
	v_fma_f64 v[137:138], v[145:146], s[4:5], v[135:136]
	v_fma_f64 v[123:124], v[145:146], s[4:5], -v[135:136]
	v_add_f64_e32 v[119:120], v[137:138], v[119:120]
	v_mul_f64_e32 v[137:138], s[26:27], v[149:150]
	s_delay_alu instid0(VALU_DEP_3) | instskip(NEXT) | instid1(VALU_DEP_2)
	v_add_f64_e32 v[121:122], v[123:124], v[121:122]
	v_fma_f64 v[139:140], v[151:152], s[12:13], -v[137:138]
	v_fma_f64 v[123:124], v[151:152], s[12:13], v[137:138]
	s_delay_alu instid0(VALU_DEP_2) | instskip(SKIP_1) | instid1(VALU_DEP_3)
	v_add_f64_e32 v[117:118], v[139:140], v[117:118]
	v_mul_f64_e32 v[139:140], s[26:27], v[155:156]
	v_add_f64_e32 v[6:7], v[123:124], v[6:7]
	s_delay_alu instid0(VALU_DEP_2) | instskip(SKIP_1) | instid1(VALU_DEP_2)
	v_fma_f64 v[143:144], v[157:158], s[12:13], v[139:140]
	v_fma_f64 v[123:124], v[157:158], s[12:13], -v[139:140]
	v_add_f64_e32 v[119:120], v[143:144], v[119:120]
	v_mul_f64_e32 v[143:144], s[18:19], v[161:162]
	s_delay_alu instid0(VALU_DEP_3) | instskip(SKIP_1) | instid1(VALU_DEP_3)
	v_add_f64_e32 v[121:122], v[123:124], v[121:122]
	v_mul_f64_e32 v[161:162], s[30:31], v[179:180]
	v_fma_f64 v[149:150], v[163:164], s[10:11], -v[143:144]
	v_fma_f64 v[123:124], v[163:164], s[10:11], v[143:144]
	s_delay_alu instid0(VALU_DEP_3) | instskip(NEXT) | instid1(VALU_DEP_3)
	v_fma_f64 v[125:126], v[181:182], s[14:15], -v[161:162]
	v_add_f64_e32 v[117:118], v[149:150], v[117:118]
	v_mul_f64_e32 v[149:150], s[18:19], v[167:168]
	s_delay_alu instid0(VALU_DEP_4) | instskip(NEXT) | instid1(VALU_DEP_2)
	v_add_f64_e32 v[6:7], v[123:124], v[6:7]
	v_fma_f64 v[155:156], v[169:170], s[10:11], v[149:150]
	v_fma_f64 v[123:124], v[169:170], s[10:11], -v[149:150]
	s_delay_alu instid0(VALU_DEP_2) | instskip(SKIP_1) | instid1(VALU_DEP_3)
	v_add_f64_e32 v[119:120], v[155:156], v[119:120]
	v_mul_f64_e32 v[155:156], s[30:31], v[173:174]
	v_add_f64_e32 v[123:124], v[123:124], v[121:122]
	s_delay_alu instid0(VALU_DEP_2) | instskip(NEXT) | instid1(VALU_DEP_2)
	v_fma_f64 v[121:122], v[175:176], s[14:15], v[155:156]
	v_add_f64_e32 v[123:124], v[125:126], v[123:124]
	v_fma_f64 v[125:126], v[98:99], s[12:13], v[247:248]
	v_fma_f64 v[167:168], v[175:176], s[14:15], -v[155:156]
	s_delay_alu instid0(VALU_DEP_4) | instskip(SKIP_2) | instid1(VALU_DEP_4)
	v_add_f64_e32 v[121:122], v[121:122], v[6:7]
	v_fma_f64 v[6:7], v[90:91], s[14:15], v[16:17]
	v_fma_f64 v[16:17], v[94:95], s[14:15], -v[243:244]
	v_add_f64_e32 v[117:118], v[167:168], v[117:118]
	v_fma_f64 v[167:168], v[181:182], s[14:15], v[161:162]
	s_delay_alu instid0(VALU_DEP_4) | instskip(NEXT) | instid1(VALU_DEP_4)
	v_add_f64_e32 v[6:7], v[6:7], v[129:130]
	v_add_f64_e32 v[16:17], v[16:17], v[131:132]
	s_delay_alu instid0(VALU_DEP_3) | instskip(NEXT) | instid1(VALU_DEP_3)
	v_add_f64_e32 v[119:120], v[167:168], v[119:120]
	v_add_f64_e32 v[6:7], v[125:126], v[6:7]
	v_fma_f64 v[125:126], v[145:146], s[12:13], -v[249:250]
	s_delay_alu instid0(VALU_DEP_1) | instskip(SKIP_1) | instid1(VALU_DEP_1)
	v_add_f64_e32 v[16:17], v[125:126], v[16:17]
	v_fma_f64 v[125:126], v[151:152], s[0:1], v[251:252]
	v_add_f64_e32 v[6:7], v[125:126], v[6:7]
	v_fma_f64 v[125:126], v[157:158], s[0:1], -v[253:254]
	s_delay_alu instid0(VALU_DEP_2) | instskip(NEXT) | instid1(VALU_DEP_2)
	v_add_f64_e32 v[0:1], v[0:1], v[6:7]
	v_add_f64_e32 v[16:17], v[125:126], v[16:17]
	v_fma_f64 v[6:7], v[169:170], s[16:17], -v[18:19]
	s_delay_alu instid0(VALU_DEP_1) | instskip(NEXT) | instid1(VALU_DEP_4)
	v_add_f64_e32 v[6:7], v[6:7], v[16:17]
	v_add_f64_e32 v[16:17], v[4:5], v[0:1]
	v_fma_f64 v[0:1], v[90:91], s[4:5], v[223:224]
	v_fma_f64 v[4:5], v[98:99], s[16:17], v[227:228]
	s_delay_alu instid0(VALU_DEP_4) | instskip(SKIP_1) | instid1(VALU_DEP_4)
	v_add_f64_e32 v[18:19], v[2:3], v[6:7]
	v_fma_f64 v[2:3], v[94:95], s[4:5], -v[225:226]
	v_add_f64_e32 v[0:1], v[0:1], v[22:23]
	v_fma_f64 v[6:7], v[181:182], s[12:13], -v[241:242]
	s_delay_alu instid0(VALU_DEP_3) | instskip(NEXT) | instid1(VALU_DEP_3)
	v_add_f64_e32 v[2:3], v[2:3], v[20:21]
	v_add_f64_e32 v[0:1], v[4:5], v[0:1]
	v_fma_f64 v[4:5], v[145:146], s[16:17], -v[229:230]
	s_delay_alu instid0(VALU_DEP_1) | instskip(SKIP_1) | instid1(VALU_DEP_1)
	v_add_f64_e32 v[2:3], v[4:5], v[2:3]
	v_fma_f64 v[4:5], v[151:152], s[14:15], v[231:232]
	v_add_f64_e32 v[0:1], v[4:5], v[0:1]
	v_fma_f64 v[4:5], v[157:158], s[14:15], -v[233:234]
	s_delay_alu instid0(VALU_DEP_1) | instskip(SKIP_1) | instid1(VALU_DEP_1)
	v_add_f64_e32 v[2:3], v[4:5], v[2:3]
	v_fma_f64 v[4:5], v[163:164], s[0:1], v[235:236]
	v_add_f64_e32 v[0:1], v[4:5], v[0:1]
	v_fma_f64 v[4:5], v[169:170], s[0:1], -v[237:238]
	s_delay_alu instid0(VALU_DEP_1) | instskip(SKIP_1) | instid1(VALU_DEP_2)
	v_add_f64_e32 v[2:3], v[4:5], v[2:3]
	v_fma_f64 v[4:5], v[175:176], s[12:13], v[239:240]
	v_add_f64_e32 v[22:23], v[6:7], v[2:3]
	s_delay_alu instid0(VALU_DEP_2) | instskip(SKIP_4) | instid1(VALU_DEP_4)
	v_add_f64_e32 v[20:21], v[4:5], v[0:1]
	v_fma_f64 v[0:1], v[90:91], s[0:1], v[203:204]
	v_fma_f64 v[2:3], v[94:95], s[0:1], -v[205:206]
	v_fma_f64 v[4:5], v[98:99], s[10:11], v[207:208]
	v_fma_f64 v[6:7], v[181:182], s[4:5], -v[221:222]
	v_add_f64_e32 v[0:1], v[0:1], v[26:27]
	s_delay_alu instid0(VALU_DEP_4) | instskip(NEXT) | instid1(VALU_DEP_2)
	v_add_f64_e32 v[2:3], v[2:3], v[24:25]
	v_add_f64_e32 v[0:1], v[4:5], v[0:1]
	v_fma_f64 v[4:5], v[145:146], s[10:11], -v[209:210]
	s_delay_alu instid0(VALU_DEP_1) | instskip(SKIP_1) | instid1(VALU_DEP_1)
	v_add_f64_e32 v[2:3], v[4:5], v[2:3]
	v_fma_f64 v[4:5], v[151:152], s[16:17], v[211:212]
	v_add_f64_e32 v[0:1], v[4:5], v[0:1]
	v_fma_f64 v[4:5], v[157:158], s[16:17], -v[213:214]
	s_delay_alu instid0(VALU_DEP_1) | instskip(SKIP_1) | instid1(VALU_DEP_1)
	v_add_f64_e32 v[2:3], v[4:5], v[2:3]
	v_fma_f64 v[4:5], v[163:164], s[12:13], v[215:216]
	v_add_f64_e32 v[0:1], v[4:5], v[0:1]
	v_fma_f64 v[4:5], v[169:170], s[12:13], -v[217:218]
	s_delay_alu instid0(VALU_DEP_1) | instskip(SKIP_1) | instid1(VALU_DEP_2)
	v_add_f64_e32 v[2:3], v[4:5], v[2:3]
	v_fma_f64 v[4:5], v[175:176], s[4:5], v[219:220]
	v_add_f64_e32 v[26:27], v[6:7], v[2:3]
	s_delay_alu instid0(VALU_DEP_2) | instskip(SKIP_4) | instid1(VALU_DEP_4)
	v_add_f64_e32 v[24:25], v[4:5], v[0:1]
	v_fma_f64 v[0:1], v[90:91], s[10:11], v[185:186]
	v_fma_f64 v[2:3], v[94:95], s[10:11], -v[127:128]
	v_fma_f64 v[4:5], v[98:99], s[0:1], v[187:188]
	v_fma_f64 v[6:7], v[181:182], s[16:17], -v[201:202]
	v_add_f64_e32 v[0:1], v[0:1], v[30:31]
	s_delay_alu instid0(VALU_DEP_4) | instskip(NEXT) | instid1(VALU_DEP_2)
	v_add_f64_e32 v[2:3], v[2:3], v[28:29]
	v_add_f64_e32 v[0:1], v[4:5], v[0:1]
	v_fma_f64 v[4:5], v[145:146], s[0:1], -v[189:190]
	s_delay_alu instid0(VALU_DEP_1) | instskip(SKIP_1) | instid1(VALU_DEP_1)
	v_add_f64_e32 v[2:3], v[4:5], v[2:3]
	v_fma_f64 v[4:5], v[151:152], s[4:5], v[191:192]
	v_add_f64_e32 v[0:1], v[4:5], v[0:1]
	v_fma_f64 v[4:5], v[157:158], s[4:5], -v[193:194]
	s_delay_alu instid0(VALU_DEP_1) | instskip(SKIP_1) | instid1(VALU_DEP_1)
	v_add_f64_e32 v[2:3], v[4:5], v[2:3]
	v_fma_f64 v[4:5], v[163:164], s[14:15], v[195:196]
	v_add_f64_e32 v[0:1], v[4:5], v[0:1]
	v_fma_f64 v[4:5], v[169:170], s[14:15], -v[197:198]
	s_delay_alu instid0(VALU_DEP_1) | instskip(SKIP_1) | instid1(VALU_DEP_2)
	v_add_f64_e32 v[2:3], v[4:5], v[2:3]
	v_fma_f64 v[4:5], v[175:176], s[16:17], v[199:200]
	v_add_f64_e32 v[30:31], v[6:7], v[2:3]
	s_delay_alu instid0(VALU_DEP_2) | instskip(SKIP_4) | instid1(VALU_DEP_4)
	v_add_f64_e32 v[28:29], v[4:5], v[0:1]
	v_fma_f64 v[0:1], v[90:91], s[12:13], -v[92:93]
	v_fma_f64 v[2:3], v[94:95], s[12:13], v[96:97]
	v_fma_f64 v[4:5], v[98:99], s[14:15], -v[141:142]
	v_fma_f64 v[6:7], v[145:146], s[14:15], v[147:148]
	v_add_f64_e32 v[0:1], v[0:1], v[86:87]
	s_delay_alu instid0(VALU_DEP_4) | instskip(SKIP_2) | instid1(VALU_DEP_4)
	v_add_f64_e32 v[2:3], v[2:3], v[88:89]
	v_fma_f64 v[86:87], v[151:152], s[10:11], -v[153:154]
	v_fma_f64 v[88:89], v[157:158], s[10:11], v[159:160]
	v_add_f64_e32 v[0:1], v[4:5], v[0:1]
	s_delay_alu instid0(VALU_DEP_4) | instskip(SKIP_2) | instid1(VALU_DEP_4)
	v_add_f64_e32 v[2:3], v[6:7], v[2:3]
	v_fma_f64 v[4:5], v[163:164], s[4:5], -v[165:166]
	v_fma_f64 v[6:7], v[169:170], s[4:5], v[171:172]
	v_add_f64_e32 v[0:1], v[86:87], v[0:1]
	s_delay_alu instid0(VALU_DEP_4)
	v_add_f64_e32 v[2:3], v[88:89], v[2:3]
	v_fma_f64 v[86:87], v[175:176], s[0:1], -v[177:178]
	v_fma_f64 v[88:89], v[181:182], s[0:1], v[183:184]
	v_cmp_gt_u32_e64 s0, 0x55, v82
	v_add_f64_e32 v[0:1], v[4:5], v[0:1]
	v_add_f64_e32 v[2:3], v[6:7], v[2:3]
	s_delay_alu instid0(VALU_DEP_2) | instskip(NEXT) | instid1(VALU_DEP_2)
	v_add_f64_e32 v[86:87], v[86:87], v[0:1]
	v_add_f64_e32 v[88:89], v[88:89], v[2:3]
	;; [unrolled: 1-line block ×4, first 2 shown]
	s_delay_alu instid0(VALU_DEP_2) | instskip(NEXT) | instid1(VALU_DEP_2)
	v_add_f64_e32 v[0:1], v[0:1], v[48:49]
	v_add_f64_e32 v[2:3], v[2:3], v[50:51]
	s_delay_alu instid0(VALU_DEP_2) | instskip(NEXT) | instid1(VALU_DEP_2)
	v_add_f64_e32 v[0:1], v[0:1], v[56:57]
	v_add_f64_e32 v[2:3], v[2:3], v[58:59]
	;; [unrolled: 3-line block ×10, first 2 shown]
	v_and_b32_e32 v0, 0xffff, v83
	v_lshlrev_b32_e32 v1, 4, v100
	s_delay_alu instid0(VALU_DEP_2) | instskip(NEXT) | instid1(VALU_DEP_1)
	v_mul_u32_u24_e32 v0, 0xdd0, v0
	v_add3_u32 v0, 0, v0, v1
	ds_store_b128 v0, v[101:104] offset:544
	ds_store_b128 v0, v[105:108] offset:816
	ds_store_b128 v0, v[109:112] offset:1088
	ds_store_b128 v0, v[113:116] offset:1360
	ds_store_b128 v0, v[117:120] offset:1632
	ds_store_b128 v0, v[121:124] offset:1904
	ds_store_b128 v0, v[16:19] offset:2176
	ds_store_b128 v0, v[20:23] offset:2448
	ds_store_b128 v0, v[24:27] offset:2720
	ds_store_b128 v0, v[28:31] offset:2992
	ds_store_b128 v0, v[12:15] offset:3264
	ds_store_b128 v0, v[86:89] offset:272
	ds_store_b128 v0, v[34:37]
	global_wb scope:SCOPE_SE
	s_wait_dscnt 0x0
	s_barrier_signal -1
	s_barrier_wait -1
	global_inv scope:SCOPE_SE
	ds_load_b128 v[32:35], v246
	ds_load_b128 v[60:63], v246 offset:3536
	ds_load_b128 v[48:51], v246 offset:7072
	;; [unrolled: 1-line block ×7, first 2 shown]
	s_and_saveexec_b32 s1, s0
	s_cbranch_execz .LBB0_25
; %bb.24:
	ds_load_b128 v[16:19], v246 offset:2176
	ds_load_b128 v[20:23], v246 offset:5712
	;; [unrolled: 1-line block ×6, first 2 shown]
	s_wait_dscnt 0x0
	scratch_store_b128 off, v[0:3], off offset:16 ; 16-byte Folded Spill
	ds_load_b128 v[8:11], v246 offset:23392
	ds_load_b128 v[0:3], v246 offset:26928
	s_wait_dscnt 0x0
	scratch_store_b128 off, v[0:3], off     ; 16-byte Folded Spill
.LBB0_25:
	s_wait_alu 0xfffe
	s_or_b32 exec_lo, exec_lo, s1
	v_mul_u32_u24_e32 v0, 7, v82
	s_mov_b32 s4, 0x667f3bcd
	s_mov_b32 s5, 0xbfe6a09e
	;; [unrolled: 1-line block ×3, first 2 shown]
	s_wait_alu 0xfffe
	s_mov_b32 s10, s4
	v_lshlrev_b32_e32 v0, 4, v0
	s_clause 0x6
	global_load_b128 v[64:67], v0, s[8:9] offset:3264
	global_load_b128 v[68:71], v0, s[8:9] offset:3280
	global_load_b128 v[72:75], v0, s[8:9] offset:3312
	global_load_b128 v[76:79], v0, s[8:9] offset:3344
	global_load_b128 v[86:89], v0, s[8:9] offset:3328
	global_load_b128 v[90:93], v0, s[8:9] offset:3296
	global_load_b128 v[94:97], v0, s[8:9] offset:3360
	global_wb scope:SCOPE_SE
	s_wait_storecnt 0x0
	s_wait_loadcnt_dscnt 0x0
	s_barrier_signal -1
	s_barrier_wait -1
	global_inv scope:SCOPE_SE
	v_mul_f64_e32 v[0:1], v[62:63], v[66:67]
	v_mul_f64_e32 v[2:3], v[60:61], v[66:67]
	;; [unrolled: 1-line block ×14, first 2 shown]
	v_fma_f64 v[0:1], v[60:61], v[64:65], -v[0:1]
	v_fma_f64 v[2:3], v[62:63], v[64:65], v[2:3]
	v_fma_f64 v[4:5], v[48:49], v[68:69], -v[4:5]
	v_fma_f64 v[6:7], v[50:51], v[68:69], v[6:7]
	;; [unrolled: 2-line block ×7, first 2 shown]
	v_add_f64_e64 v[48:49], v[32:33], -v[48:49]
	v_add_f64_e64 v[50:51], v[34:35], -v[50:51]
	;; [unrolled: 1-line block ×8, first 2 shown]
	v_fma_f64 v[32:33], v[32:33], 2.0, -v[48:49]
	v_fma_f64 v[34:35], v[34:35], 2.0, -v[50:51]
	;; [unrolled: 1-line block ×6, first 2 shown]
	v_add_f64_e64 v[54:55], v[48:49], -v[54:55]
	v_add_f64_e32 v[56:57], v[50:51], v[52:53]
	v_fma_f64 v[36:37], v[36:37], 2.0, -v[40:41]
	v_fma_f64 v[38:39], v[38:39], 2.0, -v[42:43]
	v_add_f64_e64 v[42:43], v[44:45], -v[42:43]
	v_add_f64_e32 v[40:41], v[46:47], v[40:41]
	v_add_f64_e64 v[4:5], v[32:33], -v[4:5]
	v_add_f64_e64 v[6:7], v[34:35], -v[6:7]
	v_fma_f64 v[60:61], v[48:49], 2.0, -v[54:55]
	v_fma_f64 v[62:63], v[50:51], 2.0, -v[56:57]
	v_add_f64_e64 v[36:37], v[0:1], -v[36:37]
	v_add_f64_e64 v[38:39], v[2:3], -v[38:39]
	v_fma_f64 v[48:49], v[44:45], 2.0, -v[42:43]
	v_fma_f64 v[44:45], v[46:47], 2.0, -v[40:41]
	s_wait_alu 0xfffe
	v_fma_f64 v[46:47], v[42:43], s[10:11], v[54:55]
	v_fma_f64 v[50:51], v[40:41], s[10:11], v[56:57]
	v_fma_f64 v[58:59], v[32:33], 2.0, -v[4:5]
	v_fma_f64 v[64:65], v[34:35], 2.0, -v[6:7]
	;; [unrolled: 1-line block ×4, first 2 shown]
	v_fma_f64 v[52:53], v[48:49], s[4:5], v[60:61]
	v_fma_f64 v[66:67], v[44:45], s[4:5], v[62:63]
	v_add_f64_e64 v[32:33], v[4:5], -v[38:39]
	v_add_f64_e32 v[34:35], v[6:7], v[36:37]
	v_fma_f64 v[36:37], v[40:41], s[4:5], v[46:47]
	v_fma_f64 v[38:39], v[42:43], s[10:11], v[50:51]
	v_add_f64_e64 v[40:41], v[58:59], -v[0:1]
	v_add_f64_e64 v[42:43], v[64:65], -v[2:3]
	v_fma_f64 v[44:45], v[44:45], s[4:5], v[52:53]
	v_fma_f64 v[46:47], v[48:49], s[10:11], v[66:67]
	v_fma_f64 v[48:49], v[4:5], 2.0, -v[32:33]
	v_fma_f64 v[50:51], v[6:7], 2.0, -v[34:35]
	;; [unrolled: 1-line block ×8, first 2 shown]
	ds_store_b128 v246, v[48:51] offset:7072
	ds_store_b128 v246, v[52:55] offset:10608
	;; [unrolled: 1-line block ×4, first 2 shown]
	ds_store_b128 v246, v[56:59]
	ds_store_b128 v246, v[60:63] offset:3536
	ds_store_b128 v246, v[32:35] offset:21216
	;; [unrolled: 1-line block ×3, first 2 shown]
	s_and_saveexec_b32 s1, s0
	s_cbranch_execz .LBB0_27
; %bb.26:
	v_add_nc_u32_e32 v0, 0x88, v82
	v_add_nc_u32_e32 v1, 0xffffffab, v82
	s_delay_alu instid0(VALU_DEP_1) | instskip(SKIP_1) | instid1(VALU_DEP_2)
	v_cndmask_b32_e64 v0, v1, v0, s0
	v_mov_b32_e32 v1, 0
	v_mul_i32_i24_e32 v0, 7, v0
	s_delay_alu instid0(VALU_DEP_1) | instskip(NEXT) | instid1(VALU_DEP_1)
	v_lshlrev_b64_e32 v[0:1], 4, v[0:1]
	v_add_co_u32 v0, s0, s8, v0
	s_wait_alu 0xf1ff
	s_delay_alu instid0(VALU_DEP_2)
	v_add_co_ci_u32_e64 v1, s0, s9, v1, s0
	s_clause 0x6
	global_load_b128 v[32:35], v[0:1], off offset:3280
	global_load_b128 v[36:39], v[0:1], off offset:3344
	;; [unrolled: 1-line block ×7, first 2 shown]
	s_clause 0x1
	scratch_load_b128 v[70:73], off, off offset:16 th:TH_LOAD_LU
	scratch_load_b128 v[66:69], off, off th:TH_LOAD_LU
	s_wait_loadcnt 0x8
	v_mul_f64_e32 v[0:1], v[26:27], v[34:35]
	s_wait_loadcnt 0x7
	v_mul_f64_e32 v[2:3], v[10:11], v[38:39]
	;; [unrolled: 2-line block ×4, first 2 shown]
	v_mul_f64_e32 v[46:47], v[20:21], v[46:47]
	s_wait_loadcnt 0x3
	v_mul_f64_e32 v[62:63], v[30:31], v[54:55]
	v_mul_f64_e32 v[34:35], v[24:25], v[34:35]
	s_wait_loadcnt 0x1
	v_mul_f64_e32 v[60:61], v[70:71], v[50:51]
	s_wait_loadcnt 0x0
	v_mul_f64_e32 v[64:65], v[68:69], v[58:59]
	v_mul_f64_e32 v[38:39], v[8:9], v[38:39]
	;; [unrolled: 1-line block ×6, first 2 shown]
	v_fma_f64 v[0:1], v[24:25], v[32:33], -v[0:1]
	v_fma_f64 v[2:3], v[8:9], v[36:37], -v[2:3]
	v_fma_f64 v[4:5], v[14:15], v[40:41], v[4:5]
	v_fma_f64 v[6:7], v[20:21], v[44:45], -v[6:7]
	v_fma_f64 v[8:9], v[22:23], v[44:45], v[46:47]
	;; [unrolled: 2-line block ×3, first 2 shown]
	v_fma_f64 v[14:15], v[72:73], v[48:49], v[60:61]
	v_fma_f64 v[22:23], v[66:67], v[56:57], -v[64:65]
	v_fma_f64 v[10:11], v[10:11], v[36:37], v[38:39]
	v_fma_f64 v[26:27], v[70:71], v[48:49], -v[50:51]
	v_fma_f64 v[12:13], v[12:13], v[40:41], -v[42:43]
	v_fma_f64 v[28:29], v[30:31], v[52:53], v[54:55]
	v_fma_f64 v[30:31], v[68:69], v[56:57], v[58:59]
	v_add_f64_e64 v[2:3], v[0:1], -v[2:3]
	v_add_f64_e64 v[4:5], v[18:19], -v[4:5]
	;; [unrolled: 1-line block ×8, first 2 shown]
	v_fma_f64 v[0:1], v[0:1], 2.0, -v[2:3]
	v_add_f64_e32 v[32:33], v[4:5], v[2:3]
	v_fma_f64 v[18:19], v[18:19], 2.0, -v[4:5]
	v_fma_f64 v[8:9], v[8:9], 2.0, -v[14:15]
	v_add_f64_e32 v[34:35], v[14:15], v[22:23]
	v_fma_f64 v[24:25], v[24:25], 2.0, -v[10:11]
	v_fma_f64 v[6:7], v[6:7], 2.0, -v[26:27]
	;; [unrolled: 1-line block ×5, first 2 shown]
	v_add_f64_e64 v[2:3], v[26:27], -v[30:31]
	v_add_f64_e64 v[28:29], v[12:13], -v[10:11]
	v_fma_f64 v[30:31], v[4:5], 2.0, -v[32:33]
	v_fma_f64 v[36:37], v[14:15], 2.0, -v[34:35]
	v_add_f64_e64 v[24:25], v[18:19], -v[24:25]
	v_add_f64_e64 v[4:5], v[6:7], -v[20:21]
	;; [unrolled: 1-line block ×4, first 2 shown]
	v_fma_f64 v[14:15], v[26:27], 2.0, -v[2:3]
	v_fma_f64 v[38:39], v[12:13], 2.0, -v[28:29]
	v_fma_f64 v[0:1], v[34:35], s[10:11], v[32:33]
	v_fma_f64 v[12:13], v[2:3], s[10:11], v[28:29]
	;; [unrolled: 1-line block ×3, first 2 shown]
	v_fma_f64 v[40:41], v[18:19], 2.0, -v[24:25]
	v_fma_f64 v[42:43], v[16:17], 2.0, -v[20:21]
	;; [unrolled: 1-line block ×4, first 2 shown]
	v_fma_f64 v[18:19], v[14:15], s[4:5], v[38:39]
	v_add_f64_e32 v[6:7], v[24:25], v[4:5]
	v_add_f64_e64 v[4:5], v[20:21], -v[10:11]
	v_fma_f64 v[2:3], v[2:3], s[10:11], v[0:1]
	v_fma_f64 v[0:1], v[34:35], s[4:5], v[12:13]
	;; [unrolled: 1-line block ×3, first 2 shown]
	v_add_f64_e64 v[14:15], v[40:41], -v[8:9]
	v_add_f64_e64 v[12:13], v[42:43], -v[16:17]
	v_fma_f64 v[8:9], v[36:37], s[4:5], v[18:19]
	v_fma_f64 v[22:23], v[24:25], 2.0, -v[6:7]
	v_fma_f64 v[20:21], v[20:21], 2.0, -v[4:5]
	;; [unrolled: 1-line block ×8, first 2 shown]
	ds_store_b128 v246, v[20:23] offset:9248
	ds_store_b128 v246, v[16:19] offset:12784
	;; [unrolled: 1-line block ×8, first 2 shown]
.LBB0_27:
	s_wait_alu 0xfffe
	s_or_b32 exec_lo, exec_lo, s1
	global_wb scope:SCOPE_SE
	s_wait_dscnt 0x0
	s_barrier_signal -1
	s_barrier_wait -1
	global_inv scope:SCOPE_SE
	s_and_saveexec_b32 s0, vcc_lo
	s_cbranch_execz .LBB0_29
; %bb.28:
	v_mul_lo_u32 v2, s3, v84
	v_mul_lo_u32 v3, s2, v85
	v_mad_co_u64_u32 v[0:1], null, s2, v84, 0
	v_dual_mov_b32 v83, 0 :: v_dual_add_nc_u32 v10, 0x88, v82
	v_lshlrev_b64_e32 v[8:9], 4, v[80:81]
	v_lshl_add_u32 v28, v82, 4, 0
	s_delay_alu instid0(VALU_DEP_3) | instskip(SKIP_4) | instid1(VALU_DEP_4)
	v_dual_mov_b32 v11, v83 :: v_dual_add_nc_u32 v12, 0x110, v82
	v_add3_u32 v1, v1, v3, v2
	v_lshlrev_b64_e32 v[14:15], 4, v[82:83]
	v_dual_mov_b32 v13, v83 :: v_dual_add_nc_u32 v22, 0x198, v82
	v_dual_mov_b32 v23, v83 :: v_dual_add_nc_u32 v24, 0x220, v82
	v_lshlrev_b64_e32 v[16:17], 4, v[0:1]
	ds_load_b128 v[0:3], v28
	ds_load_b128 v[4:7], v28 offset:2176
	v_mov_b32_e32 v25, v83
	v_lshlrev_b64_e32 v[22:23], 4, v[22:23]
	v_add_co_u32 v18, vcc_lo, s6, v16
	s_wait_alu 0xfffd
	v_add_co_ci_u32_e32 v19, vcc_lo, s7, v17, vcc_lo
	v_lshlrev_b64_e32 v[16:17], 4, v[10:11]
	s_delay_alu instid0(VALU_DEP_3) | instskip(SKIP_1) | instid1(VALU_DEP_3)
	v_add_co_u32 v30, vcc_lo, v18, v8
	s_wait_alu 0xfffd
	v_add_co_ci_u32_e32 v31, vcc_lo, v19, v9, vcc_lo
	v_lshlrev_b64_e32 v[18:19], 4, v[12:13]
	s_delay_alu instid0(VALU_DEP_3) | instskip(SKIP_1) | instid1(VALU_DEP_3)
	v_add_co_u32 v20, vcc_lo, v30, v14
	s_wait_alu 0xfffd
	v_add_co_ci_u32_e32 v21, vcc_lo, v31, v15, vcc_lo
	ds_load_b128 v[8:11], v28 offset:4352
	ds_load_b128 v[12:15], v28 offset:6528
	v_add_co_u32 v16, vcc_lo, v30, v16
	s_wait_alu 0xfffd
	v_add_co_ci_u32_e32 v17, vcc_lo, v31, v17, vcc_lo
	v_add_co_u32 v18, vcc_lo, v30, v18
	s_wait_alu 0xfffd
	v_add_co_ci_u32_e32 v19, vcc_lo, v31, v19, vcc_lo
	;; [unrolled: 3-line block ×3, first 2 shown]
	s_wait_dscnt 0x3
	global_store_b128 v[20:21], v[0:3], off
	s_wait_dscnt 0x2
	global_store_b128 v[16:17], v[4:7], off
	;; [unrolled: 2-line block ×4, first 2 shown]
	v_add_nc_u32_e32 v8, 0x2a8, v82
	v_lshlrev_b64_e32 v[0:1], 4, v[24:25]
	v_dual_mov_b32 v9, v83 :: v_dual_add_nc_u32 v10, 0x330, v82
	v_dual_mov_b32 v11, v83 :: v_dual_add_nc_u32 v22, 0x3b8, v82
	v_dual_mov_b32 v23, v83 :: v_dual_add_nc_u32 v24, 0x440, v82
	s_delay_alu instid0(VALU_DEP_4)
	v_add_co_u32 v16, vcc_lo, v30, v0
	s_wait_alu 0xfffd
	v_add_co_ci_u32_e32 v17, vcc_lo, v31, v1, vcc_lo
	ds_load_b128 v[0:3], v28 offset:8704
	ds_load_b128 v[4:7], v28 offset:10880
	v_lshlrev_b64_e32 v[18:19], 4, v[8:9]
	v_lshlrev_b64_e32 v[20:21], 4, v[10:11]
	ds_load_b128 v[8:11], v28 offset:13056
	ds_load_b128 v[12:15], v28 offset:15232
	v_lshlrev_b64_e32 v[22:23], 4, v[22:23]
	v_add_co_u32 v18, vcc_lo, v30, v18
	s_wait_alu 0xfffd
	v_add_co_ci_u32_e32 v19, vcc_lo, v31, v19, vcc_lo
	v_add_co_u32 v20, vcc_lo, v30, v20
	s_wait_alu 0xfffd
	v_add_co_ci_u32_e32 v21, vcc_lo, v31, v21, vcc_lo
	v_add_co_u32 v22, vcc_lo, v30, v22
	s_wait_dscnt 0x3
	global_store_b128 v[16:17], v[0:3], off
	s_wait_dscnt 0x2
	global_store_b128 v[18:19], v[4:7], off
	v_dual_mov_b32 v3, v83 :: v_dual_add_nc_u32 v2, 0x4c8, v82
	s_wait_alu 0xfffd
	v_add_co_ci_u32_e32 v23, vcc_lo, v31, v23, vcc_lo
	v_lshlrev_b64_e32 v[0:1], 4, v[24:25]
	s_wait_dscnt 0x1
	global_store_b128 v[20:21], v[8:11], off
	s_wait_dscnt 0x0
	global_store_b128 v[22:23], v[12:15], off
	v_lshlrev_b64_e32 v[8:9], 4, v[2:3]
	v_dual_mov_b32 v11, v83 :: v_dual_add_nc_u32 v10, 0x550, v82
	v_add_co_u32 v20, vcc_lo, v30, v0
	s_wait_alu 0xfffd
	v_add_co_ci_u32_e32 v21, vcc_lo, v31, v1, vcc_lo
	s_delay_alu instid0(VALU_DEP_4)
	v_add_co_u32 v22, vcc_lo, v30, v8
	ds_load_b128 v[0:3], v28 offset:17408
	ds_load_b128 v[4:7], v28 offset:19584
	s_wait_alu 0xfffd
	v_add_co_ci_u32_e32 v23, vcc_lo, v31, v9, vcc_lo
	v_lshlrev_b64_e32 v[26:27], 4, v[10:11]
	ds_load_b128 v[8:11], v28 offset:21760
	ds_load_b128 v[12:15], v28 offset:23936
	;; [unrolled: 1-line block ×3, first 2 shown]
	v_add_nc_u32_e32 v24, 0x5d8, v82
	v_add_nc_u32_e32 v82, 0x660, v82
	v_add_co_u32 v26, vcc_lo, v30, v26
	s_delay_alu instid0(VALU_DEP_3) | instskip(NEXT) | instid1(VALU_DEP_3)
	v_lshlrev_b64_e32 v[24:25], 4, v[24:25]
	v_lshlrev_b64_e32 v[28:29], 4, v[82:83]
	s_wait_alu 0xfffd
	v_add_co_ci_u32_e32 v27, vcc_lo, v31, v27, vcc_lo
	s_delay_alu instid0(VALU_DEP_3)
	v_add_co_u32 v24, vcc_lo, v30, v24
	s_wait_alu 0xfffd
	v_add_co_ci_u32_e32 v25, vcc_lo, v31, v25, vcc_lo
	v_add_co_u32 v28, vcc_lo, v30, v28
	s_wait_alu 0xfffd
	v_add_co_ci_u32_e32 v29, vcc_lo, v31, v29, vcc_lo
	s_wait_dscnt 0x4
	global_store_b128 v[20:21], v[0:3], off
	s_wait_dscnt 0x3
	global_store_b128 v[22:23], v[4:7], off
	;; [unrolled: 2-line block ×5, first 2 shown]
.LBB0_29:
	s_nop 0
	s_sendmsg sendmsg(MSG_DEALLOC_VGPRS)
	s_endpgm
	.section	.rodata,"a",@progbits
	.p2align	6, 0x0
	.amdhsa_kernel fft_rtc_fwd_len1768_factors_17_13_8_wgs_136_tpt_136_halfLds_dp_op_CI_CI_unitstride_sbrr_C2R_dirReg
		.amdhsa_group_segment_fixed_size 0
		.amdhsa_private_segment_fixed_size 52
		.amdhsa_kernarg_size 104
		.amdhsa_user_sgpr_count 2
		.amdhsa_user_sgpr_dispatch_ptr 0
		.amdhsa_user_sgpr_queue_ptr 0
		.amdhsa_user_sgpr_kernarg_segment_ptr 1
		.amdhsa_user_sgpr_dispatch_id 0
		.amdhsa_user_sgpr_private_segment_size 0
		.amdhsa_wavefront_size32 1
		.amdhsa_uses_dynamic_stack 0
		.amdhsa_enable_private_segment 1
		.amdhsa_system_sgpr_workgroup_id_x 1
		.amdhsa_system_sgpr_workgroup_id_y 0
		.amdhsa_system_sgpr_workgroup_id_z 0
		.amdhsa_system_sgpr_workgroup_info 0
		.amdhsa_system_vgpr_workitem_id 0
		.amdhsa_next_free_vgpr 255
		.amdhsa_next_free_sgpr 56
		.amdhsa_reserve_vcc 1
		.amdhsa_float_round_mode_32 0
		.amdhsa_float_round_mode_16_64 0
		.amdhsa_float_denorm_mode_32 3
		.amdhsa_float_denorm_mode_16_64 3
		.amdhsa_fp16_overflow 0
		.amdhsa_workgroup_processor_mode 1
		.amdhsa_memory_ordered 1
		.amdhsa_forward_progress 0
		.amdhsa_round_robin_scheduling 0
		.amdhsa_exception_fp_ieee_invalid_op 0
		.amdhsa_exception_fp_denorm_src 0
		.amdhsa_exception_fp_ieee_div_zero 0
		.amdhsa_exception_fp_ieee_overflow 0
		.amdhsa_exception_fp_ieee_underflow 0
		.amdhsa_exception_fp_ieee_inexact 0
		.amdhsa_exception_int_div_zero 0
	.end_amdhsa_kernel
	.text
.Lfunc_end0:
	.size	fft_rtc_fwd_len1768_factors_17_13_8_wgs_136_tpt_136_halfLds_dp_op_CI_CI_unitstride_sbrr_C2R_dirReg, .Lfunc_end0-fft_rtc_fwd_len1768_factors_17_13_8_wgs_136_tpt_136_halfLds_dp_op_CI_CI_unitstride_sbrr_C2R_dirReg
                                        ; -- End function
	.section	.AMDGPU.csdata,"",@progbits
; Kernel info:
; codeLenInByte = 15020
; NumSgprs: 58
; NumVgprs: 255
; ScratchSize: 52
; MemoryBound: 0
; FloatMode: 240
; IeeeMode: 1
; LDSByteSize: 0 bytes/workgroup (compile time only)
; SGPRBlocks: 7
; VGPRBlocks: 31
; NumSGPRsForWavesPerEU: 58
; NumVGPRsForWavesPerEU: 255
; Occupancy: 5
; WaveLimiterHint : 1
; COMPUTE_PGM_RSRC2:SCRATCH_EN: 1
; COMPUTE_PGM_RSRC2:USER_SGPR: 2
; COMPUTE_PGM_RSRC2:TRAP_HANDLER: 0
; COMPUTE_PGM_RSRC2:TGID_X_EN: 1
; COMPUTE_PGM_RSRC2:TGID_Y_EN: 0
; COMPUTE_PGM_RSRC2:TGID_Z_EN: 0
; COMPUTE_PGM_RSRC2:TIDIG_COMP_CNT: 0
	.text
	.p2alignl 7, 3214868480
	.fill 96, 4, 3214868480
	.type	__hip_cuid_130d857070bfc5b4,@object ; @__hip_cuid_130d857070bfc5b4
	.section	.bss,"aw",@nobits
	.globl	__hip_cuid_130d857070bfc5b4
__hip_cuid_130d857070bfc5b4:
	.byte	0                               ; 0x0
	.size	__hip_cuid_130d857070bfc5b4, 1

	.ident	"AMD clang version 19.0.0git (https://github.com/RadeonOpenCompute/llvm-project roc-6.4.0 25133 c7fe45cf4b819c5991fe208aaa96edf142730f1d)"
	.section	".note.GNU-stack","",@progbits
	.addrsig
	.addrsig_sym __hip_cuid_130d857070bfc5b4
	.amdgpu_metadata
---
amdhsa.kernels:
  - .args:
      - .actual_access:  read_only
        .address_space:  global
        .offset:         0
        .size:           8
        .value_kind:     global_buffer
      - .offset:         8
        .size:           8
        .value_kind:     by_value
      - .actual_access:  read_only
        .address_space:  global
        .offset:         16
        .size:           8
        .value_kind:     global_buffer
      - .actual_access:  read_only
        .address_space:  global
        .offset:         24
        .size:           8
        .value_kind:     global_buffer
      - .actual_access:  read_only
        .address_space:  global
        .offset:         32
        .size:           8
        .value_kind:     global_buffer
      - .offset:         40
        .size:           8
        .value_kind:     by_value
      - .actual_access:  read_only
        .address_space:  global
        .offset:         48
        .size:           8
        .value_kind:     global_buffer
      - .actual_access:  read_only
        .address_space:  global
        .offset:         56
        .size:           8
        .value_kind:     global_buffer
      - .offset:         64
        .size:           4
        .value_kind:     by_value
      - .actual_access:  read_only
        .address_space:  global
        .offset:         72
        .size:           8
        .value_kind:     global_buffer
      - .actual_access:  read_only
        .address_space:  global
        .offset:         80
        .size:           8
        .value_kind:     global_buffer
      - .actual_access:  read_only
        .address_space:  global
        .offset:         88
        .size:           8
        .value_kind:     global_buffer
      - .actual_access:  write_only
        .address_space:  global
        .offset:         96
        .size:           8
        .value_kind:     global_buffer
    .group_segment_fixed_size: 0
    .kernarg_segment_align: 8
    .kernarg_segment_size: 104
    .language:       OpenCL C
    .language_version:
      - 2
      - 0
    .max_flat_workgroup_size: 136
    .name:           fft_rtc_fwd_len1768_factors_17_13_8_wgs_136_tpt_136_halfLds_dp_op_CI_CI_unitstride_sbrr_C2R_dirReg
    .private_segment_fixed_size: 52
    .sgpr_count:     58
    .sgpr_spill_count: 0
    .symbol:         fft_rtc_fwd_len1768_factors_17_13_8_wgs_136_tpt_136_halfLds_dp_op_CI_CI_unitstride_sbrr_C2R_dirReg.kd
    .uniform_work_group_size: 1
    .uses_dynamic_stack: false
    .vgpr_count:     255
    .vgpr_spill_count: 20
    .wavefront_size: 32
    .workgroup_processor_mode: 1
amdhsa.target:   amdgcn-amd-amdhsa--gfx1201
amdhsa.version:
  - 1
  - 2
...

	.end_amdgpu_metadata
